;; amdgpu-corpus repo=ROCm/rocFFT kind=compiled arch=gfx1030 opt=O3
	.text
	.amdgcn_target "amdgcn-amd-amdhsa--gfx1030"
	.amdhsa_code_object_version 6
	.protected	bluestein_single_fwd_len4000_dim1_sp_op_CI_CI ; -- Begin function bluestein_single_fwd_len4000_dim1_sp_op_CI_CI
	.globl	bluestein_single_fwd_len4000_dim1_sp_op_CI_CI
	.p2align	8
	.type	bluestein_single_fwd_len4000_dim1_sp_op_CI_CI,@function
bluestein_single_fwd_len4000_dim1_sp_op_CI_CI: ; @bluestein_single_fwd_len4000_dim1_sp_op_CI_CI
; %bb.0:
	s_load_dwordx4 s[16:19], s[4:5], 0x28
	v_mul_u32_u24_e32 v1, 0x148, v0
	v_mov_b32_e32 v129, 0
	s_mov_b32 s0, exec_lo
	v_lshrrev_b32_e32 v1, 16, v1
	v_add_nc_u32_e32 v128, s6, v1
	s_waitcnt lgkmcnt(0)
	v_cmpx_gt_u64_e64 s[16:17], v[128:129]
	s_cbranch_execz .LBB0_2
; %bb.1:
	s_clause 0x1
	s_load_dwordx4 s[0:3], s[4:5], 0x18
	s_load_dwordx4 s[8:11], s[4:5], 0x0
	v_mul_lo_u16 v1, 0xc8, v1
	v_sub_nc_u16 v64, v0, v1
	v_and_b32_e32 v183, 0xffff, v64
	v_lshlrev_b32_e32 v184, 3, v183
	s_waitcnt lgkmcnt(0)
	s_load_dwordx4 s[12:15], s[0:1], 0x0
	s_clause 0x1
	global_load_dwordx2 v[157:158], v184, s[8:9]
	global_load_dwordx2 v[124:125], v184, s[8:9] offset:1600
	v_add_co_u32 v84, s0, s8, v184
	v_add_co_ci_u32_e64 v85, null, s9, 0, s0
	v_add_nc_u32_e32 v193, 0xc00, v184
	v_add_co_u32 v0, vcc_lo, 0x800, v84
	v_add_co_ci_u32_e32 v1, vcc_lo, 0, v85, vcc_lo
	v_add_co_u32 v2, vcc_lo, 0x1800, v84
	v_add_co_ci_u32_e32 v3, vcc_lo, 0, v85, vcc_lo
	;; [unrolled: 2-line block ×3, first 2 shown]
	s_waitcnt lgkmcnt(0)
	v_mad_u64_u32 v[6:7], null, s14, v128, 0
	v_add_co_u32 v8, vcc_lo, 0x3000, v84
	v_mad_u64_u32 v[10:11], null, s12, v183, 0
	v_add_co_ci_u32_e32 v9, vcc_lo, 0, v85, vcc_lo
	v_add_co_u32 v12, vcc_lo, 0x3800, v84
	v_mad_u64_u32 v[16:17], null, s15, v128, v[7:8]
	v_add_co_ci_u32_e32 v13, vcc_lo, 0, v85, vcc_lo
	;; [unrolled: 3-line block ×3, first 2 shown]
	v_add_co_u32 v17, vcc_lo, 0x5000, v84
	v_mov_b32_e32 v7, v16
	v_add_co_ci_u32_e32 v18, vcc_lo, 0, v85, vcc_lo
	v_add_co_u32 v20, vcc_lo, 0x6000, v84
	v_add_co_ci_u32_e32 v21, vcc_lo, 0, v85, vcc_lo
	v_add_co_u32 v22, vcc_lo, 0x7000, v84
	v_mov_b32_e32 v11, v19
	v_lshlrev_b64 v[6:7], 3, v[6:7]
	v_add_co_ci_u32_e32 v23, vcc_lo, 0, v85, vcc_lo
	v_add_co_u32 v24, vcc_lo, 0x1000, v84
	v_add_co_ci_u32_e32 v25, vcc_lo, 0, v85, vcc_lo
	v_lshlrev_b64 v[10:11], 3, v[10:11]
	v_add_co_u32 v6, vcc_lo, s18, v6
	v_add_co_ci_u32_e32 v7, vcc_lo, s19, v7, vcc_lo
	s_mul_i32 s1, s13, 0xc80
	v_add_co_u32 v6, vcc_lo, v6, v10
	v_add_co_ci_u32_e32 v7, vcc_lo, v7, v11, vcc_lo
	s_mul_hi_u32 s6, s12, 0xc80
	s_mul_i32 s0, s12, 0xc80
	s_add_i32 s1, s6, s1
	v_add_co_u32 v10, vcc_lo, v6, s0
	v_add_co_ci_u32_e32 v11, vcc_lo, s1, v7, vcc_lo
	s_clause 0x3
	global_load_dwordx2 v[163:164], v[0:1], off offset:1152
	global_load_dwordx2 v[159:160], v[2:3], off offset:256
	;; [unrolled: 1-line block ×4, first 2 shown]
	v_add_co_u32 v0, vcc_lo, v10, s0
	v_add_co_ci_u32_e32 v1, vcc_lo, s1, v11, vcc_lo
	s_clause 0x2
	global_load_dwordx2 v[151:152], v[12:13], off offset:1664
	global_load_dwordx2 v[153:154], v[14:15], off offset:768
	;; [unrolled: 1-line block ×3, first 2 shown]
	v_add_co_u32 v26, vcc_lo, v0, s0
	v_add_co_ci_u32_e32 v27, vcc_lo, s1, v1, vcc_lo
	global_load_dwordx2 v[10:11], v[10:11], off
	v_add_co_u32 v4, vcc_lo, v26, s0
	v_add_co_ci_u32_e32 v5, vcc_lo, s1, v27, vcc_lo
	s_clause 0x1
	global_load_dwordx2 v[149:150], v[20:21], off offset:1024
	global_load_dwordx2 v[145:146], v[22:23], off offset:128
	global_load_dwordx2 v[6:7], v[6:7], off
	v_add_co_u32 v8, vcc_lo, v4, s0
	v_add_co_ci_u32_e32 v9, vcc_lo, s1, v5, vcc_lo
	s_mul_i32 s6, s13, 0xffff95c0
	v_add_co_u32 v28, vcc_lo, v8, s0
	v_add_co_ci_u32_e32 v29, vcc_lo, s1, v9, vcc_lo
	s_sub_i32 s6, s6, s12
	v_add_co_u32 v14, vcc_lo, v28, s0
	v_add_co_ci_u32_e32 v15, vcc_lo, s1, v29, vcc_lo
	global_load_dwordx2 v[0:1], v[0:1], off
	global_load_dwordx2 v[141:142], v[24:25], off offset:704
	v_add_co_u32 v30, vcc_lo, v14, s0
	v_add_co_ci_u32_e32 v31, vcc_lo, s1, v15, vcc_lo
	s_clause 0x1
	global_load_dwordx2 v[24:25], v[26:27], off
	global_load_dwordx2 v[4:5], v[4:5], off
	;; [unrolled: 1-line block ×3, first 2 shown]
	v_add_co_u32 v32, vcc_lo, v30, s0
	v_add_co_ci_u32_e32 v33, vcc_lo, s1, v31, vcc_lo
	global_load_dwordx2 v[26:27], v[28:29], off
	global_load_dwordx2 v[14:15], v[14:15], off
	v_add_nc_u32_e32 v190, 0x1800, v184
	v_mad_u64_u32 v[19:20], null, 0xffff95c0, s12, v[32:33]
	v_add_nc_u32_e32 v192, 0x2400, v184
	v_add_nc_u32_e32 v188, 0x3200, v184
	;; [unrolled: 1-line block ×7, first 2 shown]
	v_add_co_u32 v28, vcc_lo, v19, s0
	v_add_nc_u32_e32 v187, 0x7000, v184
	v_add_nc_u32_e32 v241, 0x600, v184
	v_add_co_ci_u32_e32 v29, vcc_lo, s1, v20, vcc_lo
	v_add_co_u32 v34, vcc_lo, v28, s0
	v_add_nc_u32_e32 v242, 0x1200, v184
	v_add_co_ci_u32_e32 v35, vcc_lo, s1, v29, vcc_lo
	global_load_dwordx2 v[30:31], v[30:31], off
	global_load_dwordx2 v[32:33], v[32:33], off
	;; [unrolled: 1-line block ×5, first 2 shown]
	v_add_co_u32 v34, vcc_lo, v34, s0
	v_add_co_ci_u32_e32 v35, vcc_lo, s1, v35, vcc_lo
	global_load_dwordx2 v[137:138], v[2:3], off offset:1856
	v_add_co_u32 v2, vcc_lo, v34, s0
	v_add_co_ci_u32_e32 v3, vcc_lo, s1, v35, vcc_lo
	v_add_co_u32 v38, vcc_lo, 0x2800, v84
	v_add_co_ci_u32_e32 v39, vcc_lo, 0, v85, vcc_lo
	;; [unrolled: 2-line block ×3, first 2 shown]
	global_load_dwordx2 v[34:35], v[34:35], off
	global_load_dwordx2 v[143:144], v[38:39], off offset:960
	global_load_dwordx2 v[2:3], v[2:3], off
	global_load_dwordx2 v[139:140], v[12:13], off offset:64
	global_load_dwordx2 v[12:13], v[40:41], off
	v_add_co_u32 v38, vcc_lo, v40, s0
	v_add_co_ci_u32_e32 v39, vcc_lo, s1, v41, vcc_lo
	v_add_co_u32 v40, vcc_lo, 0x4000, v84
	v_add_co_ci_u32_e32 v41, vcc_lo, 0, v85, vcc_lo
	;; [unrolled: 2-line block ×4, first 2 shown]
	global_load_dwordx2 v[133:134], v[40:41], off offset:1216
	global_load_dwordx2 v[38:39], v[38:39], off
	global_load_dwordx2 v[135:136], v[17:18], off offset:320
	global_load_dwordx2 v[16:17], v[42:43], off
	global_load_dwordx2 v[126:127], v[44:45], off offset:1472
	v_add_co_u32 v40, vcc_lo, v42, s0
	v_add_co_ci_u32_e32 v41, vcc_lo, s1, v43, vcc_lo
	v_add_co_u32 v42, vcc_lo, 0x6800, v84
	v_add_co_ci_u32_e32 v43, vcc_lo, 0, v85, vcc_lo
	v_add_co_u32 v44, vcc_lo, v40, s0
	v_add_co_ci_u32_e32 v45, vcc_lo, s1, v41, vcc_lo
	global_load_dwordx2 v[40:41], v[40:41], off
	s_clause 0x1
	global_load_dwordx2 v[129:130], v[42:43], off offset:576
	global_load_dwordx2 v[131:132], v[22:23], off offset:1728
	global_load_dwordx2 v[21:22], v[44:45], off
	s_load_dwordx4 s[0:3], s[2:3], 0x0
	v_cmp_gt_u16_e32 vcc_lo, 0x64, v64
	v_add_nc_u32_e32 v243, 0x1e00, v184
	v_add_nc_u32_e32 v244, 0x2b00, v184
	;; [unrolled: 1-line block ×6, first 2 shown]
	s_waitcnt vmcnt(30)
	v_mul_f32_e32 v42, v11, v164
	v_mul_f32_e32 v18, v10, v164
	s_waitcnt vmcnt(27)
	v_mul_f32_e32 v44, v7, v158
	v_mul_f32_e32 v23, v6, v158
	v_fmac_f32_e32 v42, v10, v163
	v_fma_f32 v43, v11, v163, -v18
	v_fmac_f32_e32 v44, v6, v157
	v_fma_f32 v45, v7, v157, -v23
	ds_write_b64 v184, v[42:43] offset:3200
	s_waitcnt vmcnt(26)
	v_mul_f32_e32 v10, v1, v160
	v_mul_f32_e32 v7, v0, v160
	s_waitcnt vmcnt(24)
	v_mul_f32_e32 v18, v24, v162
	s_waitcnt vmcnt(23)
	v_mul_f32_e32 v6, v5, v156
	v_mul_f32_e32 v23, v4, v156
	v_fmac_f32_e32 v10, v0, v159
	v_mul_f32_e32 v0, v25, v162
	v_fma_f32 v11, v1, v159, -v7
	v_fmac_f32_e32 v6, v4, v155
	v_fma_f32 v7, v5, v155, -v23
	s_waitcnt vmcnt(22)
	v_mul_f32_e32 v4, v9, v152
	v_fmac_f32_e32 v0, v24, v161
	v_fma_f32 v1, v25, v161, -v18
	ds_write_b64 v184, v[10:11] offset:6400
	ds_write_b64 v184, v[0:1] offset:9600
	v_mul_f32_e32 v1, v8, v152
	ds_write_b64 v184, v[6:7] offset:12800
	v_fmac_f32_e32 v4, v8, v151
	s_waitcnt vmcnt(21)
	v_mul_f32_e32 v7, v26, v154
	s_waitcnt vmcnt(20)
	v_mul_f32_e32 v6, v15, v148
	v_mul_f32_e32 v8, v14, v148
	v_mul_f32_e32 v0, v27, v154
	v_fma_f32 v5, v9, v151, -v1
	v_fma_f32 v1, v27, v153, -v7
	v_fmac_f32_e32 v6, v14, v147
	v_fma_f32 v7, v15, v147, -v8
	v_fmac_f32_e32 v0, v26, v153
	s_waitcnt vmcnt(19)
	v_mul_f32_e32 v8, v31, v150
	ds_write_b64 v184, v[4:5] offset:16000
	ds_write_b64 v184, v[0:1] offset:19200
	v_mul_f32_e32 v1, v30, v150
	ds_write_b64 v184, v[6:7] offset:22400
	s_waitcnt vmcnt(18)
	v_mul_f32_e32 v0, v33, v146
	v_mul_f32_e32 v5, v32, v146
	s_waitcnt vmcnt(17)
	v_mul_f32_e32 v4, v20, v125
	v_mul_f32_e32 v6, v19, v125
	v_fmac_f32_e32 v8, v30, v149
	v_fma_f32 v9, v31, v149, -v1
	v_fmac_f32_e32 v0, v32, v145
	v_fma_f32 v1, v33, v145, -v5
	;; [unrolled: 2-line block ×3, first 2 shown]
	ds_write_b64 v184, v[8:9] offset:25600
	s_waitcnt vmcnt(16)
	v_mul_f32_e32 v6, v29, v142
	ds_write_b64 v184, v[0:1] offset:28800
	v_mul_f32_e32 v1, v28, v142
	s_waitcnt vmcnt(14)
	v_mul_f32_e32 v0, v37, v138
	ds_write2_b64 v184, v[44:45], v[4:5] offset1:200
	v_mul_f32_e32 v5, v36, v138
	s_waitcnt vmcnt(12)
	v_mul_f32_e32 v4, v35, v144
	v_mul_f32_e32 v9, v34, v144
	s_waitcnt vmcnt(10)
	v_mul_f32_e32 v8, v3, v140
	v_mul_f32_e32 v10, v2, v140
	v_fmac_f32_e32 v6, v28, v141
	v_fma_f32 v7, v29, v141, -v1
	v_fmac_f32_e32 v0, v36, v137
	v_fma_f32 v1, v37, v137, -v5
	v_fmac_f32_e32 v4, v34, v143
	v_fma_f32 v5, v35, v143, -v9
	v_fmac_f32_e32 v8, v2, v139
	v_fma_f32 v9, v3, v139, -v10
	ds_write_b64 v184, v[6:7] offset:4800
	ds_write_b64 v184, v[0:1] offset:8000
	;; [unrolled: 1-line block ×3, first 2 shown]
	s_waitcnt vmcnt(8)
	v_mul_f32_e32 v0, v13, v134
	v_mul_f32_e32 v1, v12, v134
	s_waitcnt vmcnt(6)
	v_mul_f32_e32 v2, v39, v136
	v_mul_f32_e32 v3, v38, v136
	;; [unrolled: 3-line block ×3, first 2 shown]
	ds_write_b64 v184, v[8:9] offset:14400
	v_fmac_f32_e32 v0, v12, v133
	v_fma_f32 v1, v13, v133, -v1
	v_fmac_f32_e32 v2, v38, v135
	v_fma_f32 v3, v39, v135, -v3
	v_fmac_f32_e32 v4, v16, v126
	s_waitcnt vmcnt(2)
	v_mul_f32_e32 v6, v41, v130
	v_mul_f32_e32 v7, v40, v130
	s_waitcnt vmcnt(0)
	v_mul_f32_e32 v8, v22, v132
	v_mul_f32_e32 v9, v21, v132
	v_fma_f32 v5, v17, v126, -v5
	v_fmac_f32_e32 v6, v40, v129
	v_fma_f32 v7, v41, v129, -v7
	v_fmac_f32_e32 v8, v21, v131
	v_fma_f32 v9, v22, v131, -v9
	ds_write_b64 v184, v[0:1] offset:17600
	ds_write_b64 v184, v[2:3] offset:20800
	;; [unrolled: 1-line block ×5, first 2 shown]
	s_waitcnt lgkmcnt(0)
	s_barrier
	buffer_gl0_inv
	ds_read2_b64 v[0:3], v184 offset1:200
	ds_read2_b64 v[36:39], v190 offset0:32 offset1:232
	ds_read2_b64 v[40:43], v188 offset1:200
	ds_read2_b64 v[28:31], v186 offset0:32 offset1:232
	;; [unrolled: 2-line block ×3, first 2 shown]
	ds_read2_b64 v[16:19], v192 offset0:48 offset1:248
	ds_read2_b64 v[20:23], v191 offset0:16 offset1:216
	;; [unrolled: 1-line block ×4, first 2 shown]
	v_add_co_u32 v32, null, 0xc8, v183
	s_waitcnt lgkmcnt(0)
	s_barrier
	buffer_gl0_inv
	v_add_f32_e32 v44, v0, v36
	v_sub_f32_e32 v46, v36, v40
	v_add_f32_e32 v45, v40, v28
	v_sub_f32_e32 v47, v24, v28
	v_add_f32_e32 v48, v36, v24
	v_sub_f32_e32 v49, v40, v36
	v_sub_f32_e32 v50, v28, v24
	v_add_f32_e32 v52, v41, v29
	v_add_f32_e32 v57, v4, v16
	;; [unrolled: 1-line block ×3, first 2 shown]
	v_sub_f32_e32 v61, v16, v20
	v_sub_f32_e32 v62, v8, v12
	v_add_f32_e32 v63, v16, v8
	v_add_f32_e32 v68, v21, v13
	;; [unrolled: 1-line block ×5, first 2 shown]
	v_sub_f32_e32 v35, v36, v24
	v_sub_f32_e32 v36, v40, v28
	;; [unrolled: 1-line block ×5, first 2 shown]
	v_add_f32_e32 v67, v5, v17
	v_sub_f32_e32 v70, v20, v12
	v_sub_f32_e32 v75, v43, v31
	v_add_f32_e32 v79, v43, v31
	v_sub_f32_e32 v81, v39, v43
	v_sub_f32_e32 v82, v43, v39
	v_add_f32_e32 v98, v18, v10
	v_add_f32_e32 v40, v44, v40
	v_add_f32_e32 v43, v78, v43
	v_add_f32_e32 v44, v46, v47
	v_add_f32_e32 v46, v49, v50
	v_add_f32_e32 v49, v61, v62
	v_fma_f32 v61, -0.5, v45, v0
	v_fma_f32 v0, -0.5, v48, v0
	v_fma_f32 v48, -0.5, v52, v1
	v_add_f32_e32 v20, v57, v20
	v_fma_f32 v45, -0.5, v58, v4
	v_fma_f32 v4, -0.5, v63, v4
	;; [unrolled: 1-line block ×4, first 2 shown]
	v_sub_f32_e32 v33, v37, v25
	v_sub_f32_e32 v34, v41, v29
	v_sub_f32_e32 v53, v37, v41
	v_add_f32_e32 v55, v37, v25
	v_sub_f32_e32 v37, v41, v37
	v_sub_f32_e32 v66, v12, v8
	;; [unrolled: 1-line block ×4, first 2 shown]
	v_add_f32_e32 v73, v2, v38
	v_sub_f32_e32 v89, v27, v31
	v_sub_f32_e32 v90, v31, v27
	;; [unrolled: 1-line block ×5, first 2 shown]
	v_add_f32_e32 v41, v51, v41
	v_add_f32_e32 v21, v67, v21
	v_fma_f32 v62, -0.5, v98, v6
	v_add_f32_e32 v28, v40, v28
	v_add_f32_e32 v31, v43, v31
	;; [unrolled: 1-line block ×3, first 2 shown]
	v_fmamk_f32 v20, v59, 0x3f737871, v45
	v_fmamk_f32 v40, v60, 0xbf737871, v4
	v_fmac_f32_e32 v4, 0x3f737871, v60
	v_fmamk_f32 v43, v70, 0x3f737871, v5
	v_fmac_f32_e32 v5, 0xbf737871, v70
	v_sub_f32_e32 v54, v25, v29
	v_sub_f32_e32 v56, v29, v25
	;; [unrolled: 1-line block ×3, first 2 shown]
	v_add_f32_e32 v74, v42, v30
	v_sub_f32_e32 v76, v38, v42
	v_sub_f32_e32 v77, v42, v38
	;; [unrolled: 1-line block ×4, first 2 shown]
	v_add_f32_e32 v39, v39, v27
	v_add_f32_e32 v93, v22, v14
	v_sub_f32_e32 v94, v19, v11
	v_sub_f32_e32 v99, v22, v18
	;; [unrolled: 1-line block ×3, first 2 shown]
	v_add_f32_e32 v42, v73, v42
	v_add_f32_e32 v50, v65, v66
	;; [unrolled: 1-line block ×3, first 2 shown]
	v_fma_f32 v1, -0.5, v55, v1
	v_add_f32_e32 v29, v41, v29
	v_add_f32_e32 v13, v21, v13
	v_fmamk_f32 v21, v69, 0xbf737871, v52
	v_fmac_f32_e32 v52, 0x3f737871, v69
	v_fmamk_f32 v73, v95, 0xbf737871, v62
	v_fmac_f32_e32 v62, 0x3f737871, v95
	v_fmac_f32_e32 v20, 0x3f167918, v60
	;; [unrolled: 1-line block ×5, first 2 shown]
	v_sub_f32_e32 v87, v26, v30
	v_sub_f32_e32 v88, v30, v26
	v_add_f32_e32 v92, v6, v18
	v_add_f32_e32 v51, v16, v71
	v_fma_f32 v16, -0.5, v79, v3
	v_fmac_f32_e32 v3, -0.5, v39
	v_fma_f32 v57, -0.5, v93, v6
	v_add_f32_e32 v6, v99, v100
	v_add_f32_e32 v30, v42, v30
	v_fmamk_f32 v41, v33, 0x3f737871, v61
	v_fmamk_f32 v42, v34, 0xbf737871, v0
	v_fmac_f32_e32 v0, 0x3f737871, v34
	v_fmamk_f32 v65, v35, 0xbf737871, v48
	v_fmac_f32_e32 v48, 0x3f737871, v35
	;; [unrolled: 2-line block ×3, first 2 shown]
	v_fmac_f32_e32 v45, 0xbf737871, v59
	v_add_f32_e32 v24, v28, v24
	v_add_f32_e32 v25, v29, v25
	v_fmac_f32_e32 v40, 0x3f167918, v59
	v_fmac_f32_e32 v21, 0xbf167918, v70
	v_fmac_f32_e32 v52, 0x3f167918, v70
	v_add_f32_e32 v8, v12, v8
	v_add_f32_e32 v9, v13, v9
	v_fmac_f32_e32 v73, 0x3f167918, v94
	v_fmac_f32_e32 v62, 0xbf167918, v94
	v_fmac_f32_e32 v20, 0x3e9e377a, v49
	v_fmac_f32_e32 v4, 0x3e9e377a, v50
	v_fmac_f32_e32 v43, 0x3e9e377a, v17
	v_fmac_f32_e32 v5, 0x3e9e377a, v17
	v_add_f32_e32 v86, v38, v26
	v_sub_f32_e32 v38, v38, v26
	v_sub_f32_e32 v96, v18, v22
	v_add_f32_e32 v102, v23, v15
	v_sub_f32_e32 v103, v22, v14
	v_add_f32_e32 v104, v19, v11
	v_add_f32_e32 v37, v37, v56
	;; [unrolled: 1-line block ×3, first 2 shown]
	v_fmamk_f32 v72, v80, 0x3f737871, v3
	v_fmac_f32_e32 v3, 0xbf737871, v80
	v_fmac_f32_e32 v41, 0x3f167918, v34
	v_fmac_f32_e32 v42, 0x3f167918, v33
	v_fmac_f32_e32 v0, 0xbf167918, v33
	v_fmac_f32_e32 v65, 0xbf167918, v36
	v_fmac_f32_e32 v48, 0x3f167918, v36
	v_fmac_f32_e32 v66, 0xbf167918, v35
	v_fmac_f32_e32 v1, 0x3f167918, v35
	v_fmac_f32_e32 v45, 0xbf167918, v60
	v_fmac_f32_e32 v40, 0x3e9e377a, v50
	v_fmac_f32_e32 v21, 0x3e9e377a, v51
	v_fmac_f32_e32 v52, 0x3e9e377a, v51
	v_add_f32_e32 v28, v24, v8
	v_add_f32_e32 v29, v25, v9
	v_sub_f32_e32 v35, v24, v8
	v_sub_f32_e32 v36, v25, v9
	v_fmac_f32_e32 v73, 0x3e9e377a, v6
	v_fmac_f32_e32 v62, 0x3e9e377a, v6
	v_mul_f32_e32 v6, 0x3f4f1bbd, v20
	v_mul_f32_e32 v8, 0x3f737871, v43
	;; [unrolled: 1-line block ×4, first 2 shown]
	v_sub_f32_e32 v97, v10, v14
	v_add_f32_e32 v101, v7, v19
	v_sub_f32_e32 v18, v18, v10
	v_add_f32_e32 v39, v82, v90
	v_fma_f32 v63, -0.5, v102, v7
	v_fmac_f32_e32 v7, -0.5, v104
	v_add_f32_e32 v14, v22, v14
	v_fmamk_f32 v22, v94, 0x3f737871, v57
	v_fmac_f32_e32 v57, 0xbf737871, v94
	v_fmac_f32_e32 v72, 0xbf167918, v38
	;; [unrolled: 1-line block ×8, first 2 shown]
	v_mul_f32_e32 v12, 0xbf167918, v20
	v_mul_f32_e32 v13, 0xbf737871, v40
	;; [unrolled: 1-line block ×3, first 2 shown]
	v_fmac_f32_e32 v6, 0x3f167918, v21
	v_fmac_f32_e32 v8, 0x3e9e377a, v40
	;; [unrolled: 1-line block ×4, first 2 shown]
	v_add_f32_e32 v47, v53, v54
	v_fma_f32 v55, -0.5, v74, v2
	v_fma_f32 v2, -0.5, v86, v2
	v_add_f32_e32 v58, v96, v97
	v_add_f32_e32 v26, v30, v26
	;; [unrolled: 1-line block ×3, first 2 shown]
	v_fmac_f32_e32 v57, 0xbf167918, v95
	v_fmac_f32_e32 v66, 0x3e9e377a, v37
	;; [unrolled: 1-line block ×4, first 2 shown]
	v_mul_f32_e32 v10, 0xbf4f1bbd, v45
	v_fmac_f32_e32 v13, 0x3e9e377a, v43
	v_fmac_f32_e32 v20, 0xbf167918, v45
	v_add_f32_e32 v30, v41, v6
	v_add_f32_e32 v37, v42, v8
	;; [unrolled: 1-line block ×4, first 2 shown]
	v_sub_f32_e32 v41, v41, v6
	v_sub_f32_e32 v43, v42, v8
	v_sub_f32_e32 v45, v0, v9
	v_sub_f32_e32 v46, v1, v17
	v_fmamk_f32 v1, v18, 0xbf737871, v63
	v_sub_f32_e32 v4, v19, v23
	v_fmamk_f32 v5, v103, 0x3f737871, v7
	v_sub_f32_e32 v6, v23, v19
	v_sub_f32_e32 v8, v15, v11
	;; [unrolled: 1-line block ×3, first 2 shown]
	v_fmac_f32_e32 v7, 0xbf737871, v103
	v_fmac_f32_e32 v63, 0x3f737871, v18
	;; [unrolled: 1-line block ×4, first 2 shown]
	v_fmamk_f32 v67, v83, 0x3f737871, v55
	v_fmac_f32_e32 v55, 0xbf737871, v83
	v_fmamk_f32 v68, v75, 0xbf737871, v2
	v_fmac_f32_e32 v2, 0x3f737871, v75
	v_fmac_f32_e32 v48, 0x3e9e377a, v47
	;; [unrolled: 1-line block ×3, first 2 shown]
	v_add_f32_e32 v6, v6, v8
	v_add_f32_e32 v4, v4, v9
	v_fmac_f32_e32 v7, 0x3f167918, v18
	v_fmac_f32_e32 v63, 0x3f167918, v103
	;; [unrolled: 1-line block ×3, first 2 shown]
	v_add_f32_e32 v0, v101, v23
	v_fmac_f32_e32 v1, 0xbf167918, v103
	v_add_f32_e32 v53, v76, v87
	v_add_f32_e32 v54, v77, v88
	v_fmamk_f32 v71, v38, 0xbf737871, v16
	v_fmac_f32_e32 v16, 0x3f737871, v38
	v_fmac_f32_e32 v61, 0xbf167918, v34
	;; [unrolled: 1-line block ×4, first 2 shown]
	v_add_f32_e32 v34, v48, v20
	v_sub_f32_e32 v48, v48, v20
	v_fmac_f32_e32 v5, 0xbf167918, v18
	v_fmac_f32_e32 v7, 0x3e9e377a, v6
	v_mul_f32_e32 v20, 0xbe9e377a, v62
	v_fmac_f32_e32 v63, 0x3e9e377a, v4
	v_mul_f32_e32 v23, 0xbf4f1bbd, v57
	v_fmac_f32_e32 v67, 0x3f167918, v75
	v_add_f32_e32 v0, v0, v15
	v_fmac_f32_e32 v1, 0x3e9e377a, v4
	v_mul_f32_e32 v15, 0x3f4f1bbd, v22
	v_add_f32_e32 v56, v81, v89
	v_fmac_f32_e32 v16, 0x3f167918, v80
	v_fmac_f32_e32 v61, 0x3e9e377a, v44
	;; [unrolled: 1-line block ×10, first 2 shown]
	v_mul_f32_e32 v25, 0xbe9e377a, v7
	v_mul_f32_e32 v49, 0xbf4f1bbd, v63
	v_add_f32_e32 v27, v31, v27
	v_fmac_f32_e32 v67, 0x3e9e377a, v53
	v_add_f32_e32 v21, v0, v11
	v_fmac_f32_e32 v15, 0x3f167918, v1
	v_mul_f32_e32 v24, 0xbf737871, v73
	v_fmac_f32_e32 v68, 0x3f167918, v83
	v_fmac_f32_e32 v71, 0xbf167918, v80
	;; [unrolled: 1-line block ×3, first 2 shown]
	v_add_f32_e32 v33, v61, v10
	v_add_f32_e32 v31, v65, v12
	v_sub_f32_e32 v47, v61, v10
	v_sub_f32_e32 v42, v65, v12
	v_mul_f32_e32 v18, 0x3f737871, v5
	v_add_f32_e32 v10, v2, v20
	v_mul_f32_e32 v22, 0xbf167918, v22
	v_add_f32_e32 v12, v55, v23
	v_fmac_f32_e32 v25, 0xbf737871, v62
	v_fmac_f32_e32 v49, 0xbf167918, v57
	v_sub_f32_e32 v0, v2, v20
	v_sub_f32_e32 v2, v55, v23
	v_mov_b32_e32 v23, 0xcccd
	v_add_f32_e32 v6, v67, v15
	v_fmac_f32_e32 v24, 0x3e9e377a, v5
	v_add_f32_e32 v5, v27, v21
	v_sub_f32_e32 v17, v67, v15
	v_sub_f32_e32 v15, v27, v21
	v_and_b32_e32 v21, 0xff, v64
	v_fmac_f32_e32 v68, 0x3e9e377a, v54
	v_fmac_f32_e32 v71, 0x3e9e377a, v56
	v_add_f32_e32 v38, v66, v13
	v_sub_f32_e32 v44, v66, v13
	v_fmac_f32_e32 v18, 0x3e9e377a, v73
	v_fmac_f32_e32 v22, 0x3f4f1bbd, v1
	v_add_f32_e32 v11, v3, v25
	v_add_f32_e32 v13, v16, v49
	v_sub_f32_e32 v1, v3, v25
	v_sub_f32_e32 v3, v16, v49
	v_mul_u32_u24_sdwa v16, v32, v23 dst_sel:DWORD dst_unused:UNUSED_PAD src0_sel:WORD_0 src1_sel:DWORD
	v_mul_lo_u16 v21, 0xcd, v21
	v_add_f32_e32 v8, v68, v18
	v_add_f32_e32 v7, v71, v22
	;; [unrolled: 1-line block ×3, first 2 shown]
	v_sub_f32_e32 v19, v68, v18
	v_sub_f32_e32 v18, v71, v22
	;; [unrolled: 1-line block ×3, first 2 shown]
	v_mul_lo_u16 v22, v64, 10
	v_mov_b32_e32 v72, 3
	v_lshrrev_b32_e32 v24, 19, v16
	v_lshrrev_b16 v27, 11, v21
	v_mul_u32_u24_e32 v21, 10, v32
	v_add_f32_e32 v4, v26, v14
	v_lshlrev_b32_sdwa v207, v72, v22 dst_sel:DWORD dst_unused:UNUSED_PAD src0_sel:DWORD src1_sel:WORD_0
	v_mul_lo_u16 v22, v24, 10
	v_mul_lo_u16 v16, v27, 10
	v_lshlrev_b32_e32 v201, 3, v21
	v_sub_f32_e32 v14, v26, v14
	ds_write_b128 v207, v[28:31]
	v_sub_nc_u16 v25, v32, v22
	v_sub_nc_u16 v16, v64, v16
	ds_write_b128 v207, v[37:40] offset:16
	ds_write_b128 v207, v[33:36] offset:32
	ds_write_b128 v207, v[41:44] offset:48
	ds_write_b128 v207, v[45:48] offset:64
	ds_write_b128 v201, v[4:7]
	ds_write_b128 v201, v[8:11] offset:16
	v_mul_lo_u16 v4, 0x48, v25
	v_and_b32_e32 v26, 0xff, v16
	ds_write_b128 v201, v[12:15] offset:32
	ds_write_b128 v201, v[17:20] offset:48
	;; [unrolled: 1-line block ×3, first 2 shown]
	s_waitcnt lgkmcnt(0)
	s_barrier
	v_and_b32_e32 v0, 0xffff, v4
	v_mad_u64_u32 v[21:22], null, 0x48, v26, s[10:11]
	buffer_gl0_inv
	v_mad_u16 v24, 0x64, v24, v25
	v_add_co_u32 v33, s6, s10, v0
	v_add_co_ci_u32_e64 v34, null, s11, 0, s6
	s_clause 0x9
	global_load_dwordx4 v[60:63], v[21:22], off
	global_load_dwordx4 v[28:31], v[21:22], off offset:16
	global_load_dwordx4 v[40:43], v[33:34], off
	global_load_dwordx4 v[12:15], v[21:22], off offset:32
	global_load_dwordx4 v[16:19], v[33:34], off offset:16
	;; [unrolled: 1-line block ×5, first 2 shown]
	global_load_dwordx2 v[165:166], v[21:22], off offset:64
	global_load_dwordx2 v[167:168], v[33:34], off offset:64
	ds_read2_b64 v[46:49], v193 offset0:16 offset1:216
	ds_read2_b64 v[50:53], v190 offset0:32 offset1:232
	ds_read2_b64 v[79:82], v192 offset0:48 offset1:248
	ds_read2_b64 v[86:89], v188 offset1:200
	ds_read2_b64 v[90:93], v191 offset0:16 offset1:216
	ds_read2_b64 v[94:97], v186 offset0:32 offset1:232
	ds_read2_b64 v[98:101], v189 offset0:48 offset1:248
	ds_read2_b64 v[102:105], v185 offset1:200
	ds_read2_b64 v[106:109], v187 offset0:16 offset1:216
	ds_read2_b64 v[20:23], v184 offset1:200
	s_waitcnt vmcnt(0) lgkmcnt(0)
	s_barrier
	buffer_gl0_inv
	v_lshlrev_b32_sdwa v199, v72, v24 dst_sel:DWORD dst_unused:UNUSED_PAD src0_sel:DWORD src1_sel:WORD_0
	v_mul_f32_e32 v54, v47, v61
	v_mul_f32_e32 v55, v46, v61
	;; [unrolled: 1-line block ×32, first 2 shown]
	v_fma_f32 v56, v46, v60, -v54
	v_fmac_f32_e32 v55, v47, v60
	v_fma_f32 v78, v50, v62, -v59
	v_fma_f32 v46, v52, v42, -v75
	v_fmac_f32_e32 v33, v53, v42
	v_fma_f32 v77, v79, v28, -v65
	v_fmac_f32_e32 v70, v80, v28
	v_fma_f32 v47, v81, v16, -v83
	v_fmac_f32_e32 v36, v82, v16
	v_fmac_f32_e32 v68, v91, v12
	v_fma_f32 v50, v92, v8, -v112
	v_fmac_f32_e32 v38, v93, v8
	v_fmac_f32_e32 v67, v99, v4
	v_fma_f32 v52, v100, v0, -v115
	v_fmac_f32_e32 v39, v101, v0
	v_fma_f32 v65, v102, v6, -v116
	;; [unrolled: 2-line block ×3, first 2 shown]
	v_fmac_f32_e32 v44, v109, v167
	v_mul_f32_e32 v66, v94, v15
	v_mul_f32_e32 v58, v102, v7
	;; [unrolled: 1-line block ×4, first 2 shown]
	v_fma_f32 v54, v48, v40, -v71
	v_fmac_f32_e32 v45, v49, v40
	v_fmac_f32_e32 v74, v51, v62
	v_fma_f32 v75, v86, v30, -v73
	v_fmac_f32_e32 v69, v87, v30
	v_fma_f32 v49, v88, v18, -v111
	;; [unrolled: 2-line block ×3, first 2 shown]
	v_fma_f32 v71, v94, v14, -v110
	v_fma_f32 v48, v96, v10, -v113
	v_fmac_f32_e32 v35, v97, v10
	v_fma_f32 v73, v98, v4, -v114
	v_fma_f32 v59, v106, v165, -v118
	v_add_f32_e32 v83, v50, v52
	v_add_f32_e32 v87, v47, v53
	v_sub_f32_e32 v89, v50, v47
	v_sub_f32_e32 v90, v52, v53
	v_add_f32_e32 v91, v38, v39
	v_add_f32_e32 v92, v36, v44
	;; [unrolled: 1-line block ×5, first 2 shown]
	v_sub_f32_e32 v119, v70, v68
	v_add_f32_e32 v122, v68, v67
	v_sub_f32_e32 v170, v70, v57
	v_sub_f32_e32 v180, v68, v70
	v_add_f32_e32 v70, v70, v57
	v_fmac_f32_e32 v66, v95, v14
	v_fmac_f32_e32 v58, v103, v6
	v_fma_f32 v51, v104, v2, -v117
	v_fmac_f32_e32 v37, v105, v2
	v_add_f32_e32 v88, v54, v47
	v_add_f32_e32 v93, v45, v36
	v_sub_f32_e32 v94, v38, v36
	v_sub_f32_e32 v95, v39, v44
	v_add_f32_e32 v96, v75, v71
	v_sub_f32_e32 v102, v50, v52
	v_add_f32_e32 v106, v49, v48
	v_add_f32_e32 v109, v21, v74
	;; [unrolled: 1-line block ×3, first 2 shown]
	v_sub_f32_e32 v113, v78, v75
	v_sub_f32_e32 v117, v77, v76
	v_add_f32_e32 v121, v76, v73
	v_sub_f32_e32 v123, v77, v59
	v_sub_f32_e32 v169, v76, v73
	;; [unrolled: 1-line block ×6, first 2 shown]
	v_add_f32_e32 v77, v77, v59
	v_fma_f32 v195, -0.5, v83, v54
	v_fmac_f32_e32 v54, -0.5, v87
	v_add_f32_e32 v87, v89, v90
	v_fma_f32 v89, -0.5, v91, v45
	v_fmac_f32_e32 v45, -0.5, v92
	v_add_f32_e32 v75, v108, v75
	v_fma_f32 v91, -0.5, v97, v20
	v_fma_f32 v97, -0.5, v122, v55
	v_fmac_f32_e32 v55, -0.5, v70
	v_add_f32_e32 v79, v34, v35
	v_add_f32_e32 v80, v33, v37
	;; [unrolled: 1-line block ×4, first 2 shown]
	v_sub_f32_e32 v101, v38, v39
	v_sub_f32_e32 v104, v47, v53
	;; [unrolled: 1-line block ×8, first 2 shown]
	v_add_f32_e32 v90, v94, v95
	v_add_f32_e32 v69, v109, v69
	;; [unrolled: 1-line block ×3, first 2 shown]
	v_fma_f32 v83, -0.5, v96, v20
	v_fma_f32 v95, -0.5, v106, v22
	;; [unrolled: 1-line block ×3, first 2 shown]
	v_fmac_f32_e32 v56, -0.5, v77
	v_fmamk_f32 v106, v102, 0x3f737871, v45
	v_fmac_f32_e32 v45, 0xbf737871, v102
	v_add_f32_e32 v20, v75, v71
	v_fmamk_f32 v75, v169, 0x3f737871, v55
	v_fmac_f32_e32 v55, 0xbf737871, v169
	v_add_f32_e32 v86, v23, v33
	v_sub_f32_e32 v81, v34, v33
	v_sub_f32_e32 v82, v35, v37
	;; [unrolled: 1-line block ×4, first 2 shown]
	v_add_f32_e32 v107, v46, v51
	v_sub_f32_e32 v116, v58, v66
	v_sub_f32_e32 v118, v59, v73
	;; [unrolled: 1-line block ×4, first 2 shown]
	v_fma_f32 v182, -0.5, v79, v23
	v_fmac_f32_e32 v23, -0.5, v80
	v_add_f32_e32 v68, v112, v68
	v_fma_f32 v92, -0.5, v98, v21
	v_fma_f32 v94, -0.5, v99, v21
	v_add_f32_e32 v77, v180, v181
	v_fmamk_f32 v99, v101, 0xbf737871, v54
	v_fmac_f32_e32 v54, 0x3f737871, v101
	v_add_f32_e32 v21, v69, v66
	v_add_f32_e32 v66, v76, v73
	v_fmamk_f32 v69, v170, 0x3f737871, v96
	v_fmamk_f32 v76, v171, 0xbf737871, v56
	v_fmac_f32_e32 v56, 0x3f737871, v171
	v_fmac_f32_e32 v96, 0xbf737871, v170
	;; [unrolled: 1-line block ×4, first 2 shown]
	v_sub_f32_e32 v103, v46, v51
	v_add_f32_e32 v110, v22, v46
	v_sub_f32_e32 v114, v65, v71
	v_sub_f32_e32 v120, v57, v67
	v_sub_f32_e32 v176, v71, v65
	v_add_f32_e32 v194, v81, v82
	v_add_f32_e32 v81, v117, v118
	v_fma_f32 v22, -0.5, v107, v22
	v_add_f32_e32 v70, v74, v177
	v_add_f32_e32 v74, v178, v179
	v_fmamk_f32 v98, v100, 0x3f737871, v23
	v_fmac_f32_e32 v23, 0xbf737871, v100
	v_add_f32_e32 v67, v68, v67
	v_fmamk_f32 v68, v123, 0xbf737871, v97
	v_fmamk_f32 v107, v173, 0xbf737871, v91
	v_fmac_f32_e32 v91, 0x3f737871, v173
	v_fmac_f32_e32 v97, 0x3f737871, v123
	v_add_f32_e32 v65, v20, v65
	v_fmac_f32_e32 v54, 0xbf167918, v105
	v_add_f32_e32 v59, v66, v59
	v_fmac_f32_e32 v69, 0x3f167918, v171
	v_fmac_f32_e32 v56, 0xbf167918, v170
	;; [unrolled: 1-line block ×5, first 2 shown]
	v_add_f32_e32 v82, v119, v120
	v_add_f32_e32 v78, v78, v176
	v_fmamk_f32 v71, v172, 0x3f737871, v83
	v_fmamk_f32 v108, v175, 0x3f737871, v94
	v_fmac_f32_e32 v94, 0xbf737871, v175
	v_fmac_f32_e32 v83, 0xbf737871, v172
	;; [unrolled: 1-line block ×3, first 2 shown]
	v_add_f32_e32 v66, v67, v57
	v_fmac_f32_e32 v68, 0xbf167918, v169
	v_fmac_f32_e32 v76, 0x3f167918, v170
	;; [unrolled: 1-line block ×6, first 2 shown]
	v_add_f32_e32 v20, v65, v59
	v_sub_f32_e32 v57, v65, v59
	v_fmac_f32_e32 v69, 0x3e9e377a, v81
	v_fmac_f32_e32 v56, 0x3e9e377a, v74
	;; [unrolled: 1-line block ×3, first 2 shown]
	v_mul_f32_e32 v59, 0xbe9e377a, v45
	v_mul_f32_e32 v81, 0xbe9e377a, v55
	v_add_f32_e32 v79, v113, v114
	v_fmamk_f32 v73, v174, 0xbf737871, v92
	v_fmac_f32_e32 v92, 0x3f737871, v174
	v_fmac_f32_e32 v75, 0xbf167918, v123
	v_fmac_f32_e32 v108, 0xbf167918, v174
	v_fmac_f32_e32 v94, 0x3f167918, v174
	v_fmac_f32_e32 v23, 0x3e9e377a, v194
	v_fmac_f32_e32 v68, 0x3e9e377a, v82
	v_fmac_f32_e32 v76, 0x3e9e377a, v74
	v_fmac_f32_e32 v107, 0x3e9e377a, v78
	v_fmac_f32_e32 v91, 0x3e9e377a, v78
	v_mul_f32_e32 v78, 0xbe9e377a, v56
	v_fmac_f32_e32 v59, 0xbf737871, v54
	v_fmac_f32_e32 v97, 0x3e9e377a, v82
	v_fmac_f32_e32 v81, 0xbf737871, v56
	v_fmac_f32_e32 v83, 0xbf167918, v173
	v_mul_f32_e32 v56, 0xbf4f1bbd, v96
	v_add_f32_e32 v80, v115, v116
	v_fmac_f32_e32 v71, 0x3f167918, v173
	v_fmac_f32_e32 v73, 0xbf167918, v175
	;; [unrolled: 1-line block ×5, first 2 shown]
	v_mul_f32_e32 v67, 0x3f167918, v68
	v_mul_f32_e32 v70, 0xbf167918, v69
	;; [unrolled: 1-line block ×3, first 2 shown]
	v_fmac_f32_e32 v78, 0x3f737871, v55
	v_add_f32_e32 v55, v23, v59
	v_sub_f32_e32 v23, v23, v59
	v_fmac_f32_e32 v92, 0x3f167918, v175
	v_mul_f32_e32 v59, 0xbf4f1bbd, v97
	v_fmac_f32_e32 v83, 0x3e9e377a, v79
	v_fmac_f32_e32 v56, 0x3f167918, v97
	v_add_f32_e32 v58, v21, v58
	v_fmac_f32_e32 v71, 0x3e9e377a, v79
	v_fmac_f32_e32 v73, 0x3e9e377a, v80
	v_mul_f32_e32 v74, 0x3f737871, v75
	v_fmac_f32_e32 v67, 0x3f4f1bbd, v69
	v_fmac_f32_e32 v70, 0x3f4f1bbd, v68
	;; [unrolled: 1-line block ×5, first 2 shown]
	v_add_f32_e32 v80, v83, v56
	v_sub_f32_e32 v82, v83, v56
	v_sub_f32_e32 v56, v34, v35
	v_add_f32_e32 v21, v58, v66
	v_sub_f32_e32 v58, v58, v66
	v_fmac_f32_e32 v74, 0x3e9e377a, v76
	v_add_f32_e32 v65, v71, v67
	v_add_f32_e32 v66, v73, v70
	v_sub_f32_e32 v67, v71, v67
	v_sub_f32_e32 v68, v73, v70
	v_add_f32_e32 v70, v108, v77
	v_sub_f32_e32 v75, v108, v77
	v_add_f32_e32 v76, v91, v78
	v_add_f32_e32 v77, v94, v81
	v_sub_f32_e32 v78, v91, v78
	v_sub_f32_e32 v79, v94, v81
	v_add_f32_e32 v81, v92, v59
	v_sub_f32_e32 v83, v92, v59
	v_sub_f32_e32 v59, v49, v46
	;; [unrolled: 1-line block ×3, first 2 shown]
	v_fmamk_f32 v91, v56, 0xbf737871, v22
	v_fmac_f32_e32 v22, 0x3f737871, v56
	v_sub_f32_e32 v92, v33, v37
	v_mul_f32_e32 v73, 0xbe9e377a, v54
	v_add_f32_e32 v59, v59, v71
	v_add_f32_e32 v54, v88, v50
	;; [unrolled: 1-line block ×3, first 2 shown]
	v_fmac_f32_e32 v22, 0xbf167918, v92
	v_add_f32_e32 v86, v93, v38
	v_fmac_f32_e32 v73, 0x3f737871, v45
	v_add_f32_e32 v54, v54, v52
	v_sub_f32_e32 v36, v36, v38
	v_fmac_f32_e32 v22, 0x3e9e377a, v59
	v_add_f32_e32 v86, v86, v39
	v_sub_f32_e32 v38, v44, v39
	v_fmamk_f32 v39, v104, 0xbf737871, v89
	v_add_f32_e32 v45, v110, v49
	v_add_f32_e32 v93, v54, v53
	;; [unrolled: 1-line block ×3, first 2 shown]
	v_sub_f32_e32 v22, v22, v73
	v_add_f32_e32 v73, v86, v44
	v_sub_f32_e32 v46, v46, v49
	v_sub_f32_e32 v47, v47, v50
	;; [unrolled: 1-line block ×3, first 2 shown]
	v_fmamk_f32 v44, v105, 0x3f737871, v195
	v_add_f32_e32 v50, v36, v38
	v_fmac_f32_e32 v39, 0xbf167918, v102
	v_fmac_f32_e32 v99, 0x3f167918, v105
	v_add_f32_e32 v49, v47, v49
	v_fmac_f32_e32 v44, 0x3f167918, v101
	v_add_f32_e32 v45, v45, v48
	;; [unrolled: 2-line block ×3, first 2 shown]
	v_sub_f32_e32 v48, v51, v48
	v_sub_f32_e32 v33, v33, v34
	v_sub_f32_e32 v34, v37, v35
	v_fmac_f32_e32 v44, 0x3e9e377a, v49
	v_fmamk_f32 v38, v103, 0xbf737871, v182
	v_mul_f32_e32 v47, 0x3f167918, v39
	v_fmac_f32_e32 v106, 0xbf167918, v104
	v_fmac_f32_e32 v99, 0x3e9e377a, v87
	v_add_f32_e32 v88, v45, v51
	v_add_f32_e32 v71, v71, v37
	;; [unrolled: 1-line block ×3, first 2 shown]
	v_fmamk_f32 v37, v92, 0x3f737871, v95
	v_add_f32_e32 v52, v33, v34
	v_mul_f32_e32 v48, 0xbf167918, v44
	v_fmac_f32_e32 v38, 0xbf167918, v100
	v_fmac_f32_e32 v47, 0x3f4f1bbd, v44
	;; [unrolled: 1-line block ×4, first 2 shown]
	v_mul_f32_e32 v44, 0xbf737871, v99
	v_fmac_f32_e32 v89, 0x3f737871, v104
	v_fmac_f32_e32 v95, 0xbf737871, v92
	;; [unrolled: 1-line block ×9, first 2 shown]
	v_mov_b32_e32 v56, 0x64
	v_add_f32_e32 v36, v38, v48
	v_sub_f32_e32 v38, v38, v48
	v_add_f32_e32 v48, v98, v44
	v_fmac_f32_e32 v89, 0x3e9e377a, v50
	v_sub_f32_e32 v50, v98, v44
	v_mul_u32_u24_sdwa v27, v27, v56 dst_sel:DWORD dst_unused:UNUSED_PAD src0_sel:WORD_0 src1_sel:DWORD
	v_lshrrev_b16 v44, 2, v32
	v_mov_b32_e32 v56, 0x147b
	v_fmac_f32_e32 v195, 0xbf737871, v105
	v_fmac_f32_e32 v91, 0x3f167918, v92
	v_add_lshl_u32 v206, v27, v26, 3
	v_mul_f32_e32 v39, 0x3f737871, v106
	v_mul_u32_u24_sdwa v26, v44, v56 dst_sel:DWORD dst_unused:UNUSED_PAD src0_sel:WORD_0 src1_sel:DWORD
	v_fmac_f32_e32 v195, 0xbf167918, v101
	v_add_f32_e32 v46, v71, v73
	v_sub_f32_e32 v34, v71, v73
	v_add_f32_e32 v69, v107, v74
	v_lshrrev_b32_e32 v73, 17, v26
	v_fmac_f32_e32 v37, 0x3e9e377a, v51
	v_fmac_f32_e32 v91, 0x3e9e377a, v59
	;; [unrolled: 1-line block ×5, first 2 shown]
	v_sub_f32_e32 v74, v107, v74
	ds_write2_b64 v206, v[20:21], v[65:66] offset1:10
	ds_write2_b64 v206, v[69:70], v[76:77] offset0:20 offset1:30
	ds_write2_b64 v206, v[80:81], v[57:58] offset0:40 offset1:50
	v_mul_lo_u16 v20, 0x64, v73
	v_add_f32_e32 v35, v37, v47
	v_sub_f32_e32 v37, v37, v47
	v_add_f32_e32 v47, v91, v39
	v_mul_f32_e32 v53, 0xbf4f1bbd, v195
	v_sub_f32_e32 v49, v91, v39
	v_fmac_f32_e32 v182, 0x3f167918, v100
	v_mul_f32_e32 v39, 0xbf4f1bbd, v89
	v_add_nc_u32_e32 v21, 0xffffff9c, v183
	ds_write2_b64 v206, v[67:68], v[74:75] offset0:60 offset1:70
	v_sub_nc_u16 v74, v32, v20
	v_fmac_f32_e32 v95, 0x3e9e377a, v51
	v_fmac_f32_e32 v53, 0x3f167918, v89
	;; [unrolled: 1-line block ×4, first 2 shown]
	v_cndmask_b32_e32 v65, v21, v183, vcc_lo
	v_mul_lo_u16 v20, 0x48, v74
	v_sub_f32_e32 v33, v88, v93
	v_add_f32_e32 v51, v95, v53
	v_add_f32_e32 v52, v182, v39
	v_sub_f32_e32 v86, v95, v53
	v_sub_f32_e32 v87, v182, v39
	v_add_f32_e32 v45, v88, v93
	v_mul_i32_i24_e32 v21, 0x48, v65
	v_and_b32_e32 v20, 0xffff, v20
	ds_write2_b64 v206, v[78:79], v[82:83] offset0:80 offset1:90
	ds_write2_b64 v199, v[45:46], v[35:36] offset1:10
	ds_write2_b64 v199, v[47:48], v[54:55] offset0:20 offset1:30
	ds_write2_b64 v199, v[51:52], v[33:34] offset0:40 offset1:50
	;; [unrolled: 1-line block ×4, first 2 shown]
	v_mul_hi_i32_i24_e32 v22, 0x48, v65
	v_add_co_u32 v66, vcc_lo, s10, v21
	v_add_co_u32 v68, s6, s10, v20
	v_add_co_ci_u32_e32 v67, vcc_lo, s11, v22, vcc_lo
	v_add_co_ci_u32_e64 v69, null, s11, 0, s6
	s_waitcnt lgkmcnt(0)
	s_barrier
	buffer_gl0_inv
	s_clause 0x9
	global_load_dwordx4 v[56:59], v[66:67], off offset:720
	global_load_dwordx4 v[48:51], v[68:69], off offset:720
	;; [unrolled: 1-line block ×8, first 2 shown]
	global_load_dwordx2 v[171:172], v[66:67], off offset:784
	global_load_dwordx2 v[169:170], v[68:69], off offset:784
	v_cmp_lt_u16_e32 vcc_lo, 0x63, v64
	ds_read2_b64 v[68:71], v193 offset0:16 offset1:216
	ds_read2_b64 v[76:79], v190 offset0:32 offset1:232
	;; [unrolled: 1-line block ×3, first 2 shown]
	s_mov_b32 s6, 0xd2f1a9fc
	s_mov_b32 s7, 0x3f30624d
	v_cndmask_b32_e64 v64, 0, 0x3e8, vcc_lo
	v_add_lshl_u32 v194, v65, v64, 3
	ds_read2_b64 v[86:89], v188 offset1:200
	ds_read2_b64 v[90:93], v191 offset0:16 offset1:216
	ds_read2_b64 v[94:97], v186 offset0:32 offset1:232
	;; [unrolled: 1-line block ×3, first 2 shown]
	ds_read2_b64 v[102:105], v185 offset1:200
	ds_read2_b64 v[106:109], v187 offset0:16 offset1:216
	ds_read2_b64 v[64:67], v184 offset1:200
	s_waitcnt vmcnt(0) lgkmcnt(0)
	s_barrier
	buffer_gl0_inv
	v_mul_f32_e32 v110, v69, v57
	v_mul_f32_e32 v111, v68, v57
	;; [unrolled: 1-line block ×25, first 2 shown]
	v_fma_f32 v110, v68, v56, -v110
	v_fmac_f32_e32 v111, v69, v56
	v_fma_f32 v112, v70, v48, -v112
	v_fmac_f32_e32 v75, v71, v48
	v_fma_f32 v68, v76, v58, -v113
	v_fmac_f32_e32 v114, v77, v58
	v_fma_f32 v113, v78, v50, -v115
	v_fmac_f32_e32 v116, v79, v50
	v_fma_f32 v69, v80, v44, -v117
	v_fma_f32 v70, v86, v46, -v121
	v_fmac_f32_e32 v122, v87, v46
	v_fma_f32 v71, v90, v52, -v174
	v_fmac_f32_e32 v175, v91, v52
	;; [unrolled: 2-line block ×5, first 2 shown]
	v_fma_f32 v79, v106, v171, -v204
	v_mul_f32_e32 v180, v97, v27
	v_mul_f32_e32 v196, v101, v37
	v_mul_f32_e32 v203, v104, v39
	v_fmac_f32_e32 v118, v81, v44
	v_fma_f32 v115, v82, v20, -v119
	v_fmac_f32_e32 v120, v83, v20
	v_fmac_f32_e32 v181, v97, v26
	;; [unrolled: 1-line block ×3, first 2 shown]
	v_sub_f32_e32 v80, v68, v70
	v_sub_f32_e32 v81, v78, v76
	;; [unrolled: 1-line block ×6, first 2 shown]
	v_add_f32_e32 v95, v175, v195
	v_add_f32_e32 v97, v71, v77
	v_mul_f32_e32 v173, v88, v23
	v_mul_f32_e32 v176, v93, v25
	;; [unrolled: 1-line block ×6, first 2 shown]
	v_fma_f32 v91, v100, v36, -v196
	v_fmac_f32_e32 v203, v105, v38
	v_sub_f32_e32 v94, v118, v175
	v_sub_f32_e32 v98, v69, v79
	;; [unrolled: 1-line block ×3, first 2 shown]
	v_add_f32_e32 v102, v64, v68
	v_add_f32_e32 v105, v110, v69
	;; [unrolled: 1-line block ×4, first 2 shown]
	v_sub_f32_e32 v117, v68, v78
	v_sub_f32_e32 v121, v70, v68
	v_add_f32_e32 v68, v68, v78
	v_sub_f32_e32 v178, v71, v69
	v_add_f32_e32 v69, v69, v79
	;; [unrolled: 2-line block ×3, first 2 shown]
	v_add_f32_e32 v80, v80, v81
	v_fma_f32 v81, -0.5, v95, v111
	v_add_f32_e32 v82, v82, v83
	v_add_f32_e32 v83, v86, v87
	v_fma_f32 v87, -0.5, v97, v110
	v_mul_f32_e32 v123, v89, v23
	v_mul_f32_e32 v209, v108, v170
	v_fmac_f32_e32 v173, v89, v22
	v_fma_f32 v89, v92, v24, -v176
	v_fmac_f32_e32 v177, v93, v24
	v_fma_f32 v90, v96, v26, -v180
	;; [unrolled: 2-line block ×3, first 2 shown]
	v_fma_f32 v93, v108, v169, -v208
	v_sub_f32_e32 v96, v205, v195
	v_sub_f32_e32 v99, v71, v77
	;; [unrolled: 1-line block ×3, first 2 shown]
	v_add_f32_e32 v103, v70, v76
	v_add_f32_e32 v104, v65, v114
	v_sub_f32_e32 v108, v114, v198
	v_sub_f32_e32 v174, v122, v114
	v_add_f32_e32 v114, v114, v198
	v_add_f32_e32 v71, v105, v71
	v_fma_f32 v97, -0.5, v107, v65
	v_fmac_f32_e32 v110, -0.5, v69
	v_fmac_f32_e32 v111, -0.5, v118
	v_fma_f32 v105, -0.5, v68, v64
	v_fmamk_f32 v68, v98, 0xbf737871, v81
	v_fmamk_f32 v107, v100, 0x3f737871, v87
	v_fmac_f32_e32 v209, v109, v169
	v_sub_f32_e32 v109, v122, v179
	v_sub_f32_e32 v119, v70, v76
	;; [unrolled: 1-line block ×4, first 2 shown]
	v_add_f32_e32 v86, v94, v96
	v_add_f32_e32 v70, v102, v70
	v_fma_f32 v94, -0.5, v103, v64
	v_add_f32_e32 v95, v104, v122
	v_add_f32_e32 v96, v106, v175
	v_fma_f32 v106, -0.5, v114, v65
	v_fmamk_f32 v114, v101, 0xbf737871, v110
	v_fmac_f32_e32 v110, 0x3f737871, v101
	v_fmamk_f32 v118, v99, 0x3f737871, v111
	v_fmac_f32_e32 v111, 0xbf737871, v99
	v_fmac_f32_e32 v68, 0xbf167918, v99
	v_fmac_f32_e32 v107, 0x3f167918, v101
	v_fmac_f32_e32 v87, 0xbf737871, v100
	v_fmac_f32_e32 v81, 0x3f737871, v98
	v_fma_f32 v88, v88, v22, -v123
	v_sub_f32_e32 v123, v76, v78
	v_add_f32_e32 v69, v178, v180
	v_add_f32_e32 v104, v182, v196
	;; [unrolled: 1-line block ×5, first 2 shown]
	v_fmamk_f32 v76, v108, 0x3f737871, v94
	v_fmamk_f32 v77, v117, 0xbf737871, v97
	;; [unrolled: 1-line block ×3, first 2 shown]
	v_fmac_f32_e32 v105, 0x3f737871, v109
	v_fmac_f32_e32 v114, 0x3f167918, v100
	;; [unrolled: 1-line block ×7, first 2 shown]
	v_sub_f32_e32 v176, v179, v198
	v_add_f32_e32 v71, v96, v195
	v_fmamk_f32 v96, v119, 0x3f737871, v106
	v_fmac_f32_e32 v106, 0xbf737871, v119
	v_fmac_f32_e32 v87, 0xbf167918, v101
	;; [unrolled: 1-line block ×3, first 2 shown]
	v_add_f32_e32 v102, v121, v123
	v_fmac_f32_e32 v76, 0x3f167918, v109
	v_fmac_f32_e32 v77, 0xbf167918, v119
	v_add_f32_e32 v70, v70, v79
	v_fmac_f32_e32 v95, 0x3f167918, v108
	v_fmac_f32_e32 v105, 0xbf167918, v108
	v_mul_f32_e32 v79, 0x3f167918, v68
	v_mul_f32_e32 v98, 0xbf167918, v107
	v_fmac_f32_e32 v114, 0x3e9e377a, v69
	v_fmac_f32_e32 v118, 0x3e9e377a, v104
	;; [unrolled: 1-line block ×4, first 2 shown]
	v_add_f32_e32 v103, v174, v176
	v_fmac_f32_e32 v94, 0xbf737871, v108
	v_fmac_f32_e32 v97, 0x3f737871, v117
	;; [unrolled: 1-line block ×6, first 2 shown]
	v_add_f32_e32 v78, v64, v78
	v_add_f32_e32 v121, v65, v198
	;; [unrolled: 1-line block ×3, first 2 shown]
	v_fmac_f32_e32 v76, 0x3e9e377a, v80
	v_fmac_f32_e32 v77, 0x3e9e377a, v82
	;; [unrolled: 1-line block ×6, first 2 shown]
	v_mul_f32_e32 v99, 0x3f737871, v118
	v_mul_f32_e32 v100, 0xbf737871, v114
	;; [unrolled: 1-line block ×4, first 2 shown]
	v_fmac_f32_e32 v96, 0x3e9e377a, v103
	v_fmac_f32_e32 v106, 0x3e9e377a, v103
	;; [unrolled: 1-line block ×4, first 2 shown]
	v_mul_f32_e32 v86, 0xbf4f1bbd, v87
	v_mul_f32_e32 v103, 0xbf4f1bbd, v81
	v_add_f32_e32 v64, v78, v70
	v_add_f32_e32 v65, v121, v71
	;; [unrolled: 1-line block ×4, first 2 shown]
	v_fmac_f32_e32 v99, 0x3e9e377a, v114
	v_fmac_f32_e32 v100, 0x3e9e377a, v118
	;; [unrolled: 1-line block ×8, first 2 shown]
	ds_write2_b64 v194, v[64:65], v[68:69] offset1:100
	v_add_f32_e32 v64, v95, v99
	v_add_f32_e32 v65, v96, v100
	v_sub_f32_e32 v68, v78, v70
	v_sub_f32_e32 v69, v121, v71
	v_add_f32_e32 v70, v105, v101
	v_add_f32_e32 v71, v106, v102
	v_add_nc_u32_e32 v195, 0x400, v194
	v_sub_f32_e32 v76, v76, v79
	v_add_f32_e32 v78, v94, v86
	v_add_f32_e32 v79, v97, v103
	v_add_nc_u32_e32 v196, 0x800, v194
	v_sub_f32_e32 v77, v77, v98
	v_sub_f32_e32 v80, v95, v99
	;; [unrolled: 1-line block ×3, first 2 shown]
	v_add_nc_u32_e32 v197, 0x1000, v194
	ds_write2_b64 v195, v[64:65], v[70:71] offset0:72 offset1:172
	ds_write2_b64 v196, v[78:79], v[68:69] offset0:144 offset1:244
	;; [unrolled: 1-line block ×3, first 2 shown]
	v_add_f32_e32 v64, v177, v202
	v_add_f32_e32 v68, v89, v91
	v_sub_f32_e32 v82, v105, v101
	v_sub_f32_e32 v83, v106, v102
	;; [unrolled: 1-line block ×4, first 2 shown]
	v_add_nc_u32_e32 v198, 0x1800, v194
	v_sub_f32_e32 v69, v115, v89
	v_fma_f32 v70, -0.5, v64, v75
	v_sub_f32_e32 v71, v115, v93
	v_sub_f32_e32 v64, v120, v177
	v_fma_f32 v76, -0.5, v68, v112
	v_sub_f32_e32 v77, v120, v209
	v_sub_f32_e32 v68, v209, v202
	;; [unrolled: 1-line block ×3, first 2 shown]
	ds_write2_b64 v198, v[82:83], v[86:87] offset0:32 offset1:132
	v_sub_f32_e32 v65, v113, v88
	v_fmamk_f32 v78, v71, 0xbf737871, v70
	v_sub_f32_e32 v79, v89, v91
	v_fmamk_f32 v81, v77, 0x3f737871, v76
	v_sub_f32_e32 v82, v177, v202
	v_add_f32_e32 v83, v64, v68
	v_sub_f32_e32 v64, v92, v90
	v_add_f32_e32 v80, v69, v80
	v_add_f32_e32 v69, v66, v113
	v_fmac_f32_e32 v78, 0xbf167918, v79
	v_fmac_f32_e32 v81, 0x3f167918, v82
	v_add_f32_e32 v87, v65, v64
	v_sub_f32_e32 v68, v116, v173
	v_add_f32_e32 v64, v69, v88
	v_fmac_f32_e32 v78, 0x3e9e377a, v83
	v_sub_f32_e32 v86, v203, v181
	v_fmac_f32_e32 v81, 0x3e9e377a, v80
	v_mad_u16 v65, 0x3e8, v73, v74
	v_add_f32_e32 v64, v64, v90
	v_mul_f32_e32 v94, 0x3f167918, v78
	v_add_f32_e32 v86, v68, v86
	v_mul_f32_e32 v95, 0xbf167918, v81
	v_add_f32_e32 v68, v88, v90
	v_add_f32_e32 v69, v67, v116
	v_lshlrev_b32_sdwa v200, v72, v65 dst_sel:DWORD dst_unused:UNUSED_PAD src0_sel:DWORD src1_sel:WORD_0
	v_add_f32_e32 v72, v64, v92
	v_add_f32_e32 v64, v173, v181
	v_fmac_f32_e32 v94, 0x3f4f1bbd, v81
	v_fmac_f32_e32 v95, 0x3f4f1bbd, v78
	v_fma_f32 v78, -0.5, v68, v66
	v_sub_f32_e32 v73, v116, v203
	v_add_f32_e32 v65, v69, v173
	v_add_f32_e32 v68, v112, v115
	;; [unrolled: 1-line block ×3, first 2 shown]
	v_fma_f32 v81, -0.5, v64, v67
	v_sub_f32_e32 v74, v113, v92
	v_fmamk_f32 v96, v73, 0x3f737871, v78
	v_sub_f32_e32 v97, v173, v181
	v_add_f32_e32 v64, v68, v89
	v_add_f32_e32 v68, v69, v177
	v_fmamk_f32 v98, v74, 0xbf737871, v81
	v_sub_f32_e32 v99, v88, v90
	v_add_f32_e32 v65, v65, v181
	v_add_f32_e32 v64, v64, v91
	v_fmac_f32_e32 v96, 0x3f167918, v97
	v_add_f32_e32 v68, v68, v202
	v_fmac_f32_e32 v98, 0xbf167918, v99
	v_add_f32_e32 v100, v65, v203
	v_add_f32_e32 v101, v64, v93
	;; [unrolled: 1-line block ×4, first 2 shown]
	v_fmac_f32_e32 v96, 0x3e9e377a, v87
	v_fmac_f32_e32 v98, 0x3e9e377a, v86
	v_add_f32_e32 v64, v72, v101
	v_fma_f32 v66, -0.5, v65, v66
	v_add_f32_e32 v65, v100, v102
	v_add_f32_e32 v68, v96, v94
	;; [unrolled: 1-line block ×3, first 2 shown]
	v_sub_f32_e32 v88, v88, v113
	v_sub_f32_e32 v90, v90, v92
	v_sub_f32_e32 v104, v181, v203
	v_fmamk_f32 v92, v97, 0xbf737871, v66
	ds_write2_b64 v200, v[64:65], v[68:69] offset1:100
	v_add_f32_e32 v68, v120, v209
	v_add_f32_e32 v88, v88, v90
	v_sub_f32_e32 v90, v173, v116
	v_add_f32_e32 v69, v115, v93
	v_sub_f32_e32 v65, v89, v115
	v_fmac_f32_e32 v75, -0.5, v68
	v_sub_f32_e32 v89, v91, v93
	v_add_f32_e32 v64, v90, v104
	v_fmac_f32_e32 v112, -0.5, v69
	v_sub_f32_e32 v68, v177, v120
	v_sub_f32_e32 v69, v202, v209
	v_fmamk_f32 v90, v79, 0x3f737871, v75
	v_fmac_f32_e32 v66, 0x3f737871, v97
	v_add_f32_e32 v103, v116, v203
	v_add_f32_e32 v65, v65, v89
	v_fmamk_f32 v89, v82, 0xbf737871, v112
	v_fmac_f32_e32 v112, 0x3f737871, v82
	v_add_f32_e32 v68, v68, v69
	v_fmac_f32_e32 v90, 0xbf167918, v71
	v_fmac_f32_e32 v75, 0xbf737871, v79
	;; [unrolled: 1-line block ×6, first 2 shown]
	v_fmac_f32_e32 v67, -0.5, v103
	v_fmac_f32_e32 v89, 0x3f167918, v77
	v_fmac_f32_e32 v112, 0xbf167918, v77
	;; [unrolled: 1-line block ×8, first 2 shown]
	v_fmamk_f32 v88, v99, 0x3f737871, v67
	v_fmac_f32_e32 v67, 0xbf737871, v99
	v_fmac_f32_e32 v89, 0x3e9e377a, v65
	;; [unrolled: 1-line block ×3, first 2 shown]
	v_mul_f32_e32 v91, 0x3f737871, v90
	v_fmac_f32_e32 v75, 0x3e9e377a, v68
	v_fmac_f32_e32 v78, 0xbf737871, v73
	;; [unrolled: 1-line block ×7, first 2 shown]
	v_mul_f32_e32 v93, 0xbf737871, v89
	v_mul_f32_e32 v103, 0xbe9e377a, v112
	v_fmac_f32_e32 v91, 0x3e9e377a, v89
	v_mul_f32_e32 v89, 0xbe9e377a, v75
	v_fmac_f32_e32 v78, 0xbf167918, v97
	v_fmac_f32_e32 v81, 0x3f167918, v99
	v_mul_f32_e32 v79, 0xbf4f1bbd, v76
	v_mul_f32_e32 v80, 0xbf4f1bbd, v70
	v_fmac_f32_e32 v88, 0x3e9e377a, v64
	v_fmac_f32_e32 v67, 0x3e9e377a, v64
	;; [unrolled: 1-line block ×9, first 2 shown]
	v_mad_u64_u32 v[86:87], null, v183, 24, s[10:11]
	v_add_f32_e32 v64, v92, v91
	v_add_f32_e32 v65, v88, v93
	v_add_f32_e32 v68, v66, v103
	v_add_f32_e32 v69, v67, v89
	v_add_nc_u32_e32 v202, 0x400, v200
	v_sub_f32_e32 v70, v72, v101
	v_sub_f32_e32 v71, v100, v102
	v_add_f32_e32 v72, v78, v79
	v_add_f32_e32 v73, v81, v80
	v_add_nc_u32_e32 v203, 0x800, v200
	v_sub_f32_e32 v74, v96, v94
	v_sub_f32_e32 v75, v98, v95
	;; [unrolled: 1-line block ×4, first 2 shown]
	v_add_nc_u32_e32 v204, 0x1000, v200
	v_sub_f32_e32 v67, v67, v89
	v_sub_f32_e32 v66, v66, v103
	;; [unrolled: 1-line block ×4, first 2 shown]
	v_add_nc_u32_e32 v205, 0x1800, v200
	ds_write2_b64 v202, v[64:65], v[68:69] offset0:72 offset1:172
	ds_write2_b64 v203, v[72:73], v[70:71] offset0:144 offset1:244
	;; [unrolled: 1-line block ×4, first 2 shown]
	v_add_co_u32 v64, vcc_lo, 0x1800, v86
	v_add_co_ci_u32_e32 v65, vcc_lo, 0, v87, vcc_lo
	v_add_co_u32 v66, vcc_lo, 0x3000, v86
	v_add_co_ci_u32_e32 v67, vcc_lo, 0, v87, vcc_lo
	;; [unrolled: 2-line block ×4, first 2 shown]
	s_waitcnt lgkmcnt(0)
	s_barrier
	buffer_gl0_inv
	s_clause 0x3
	global_load_dwordx4 v[72:75], v[64:65], off offset:1776
	global_load_dwordx4 v[68:71], v[66:67], off offset:432
	global_load_dwordx2 v[173:174], v[76:77], off offset:16
	global_load_dwordx4 v[64:67], v[78:79], off offset:1136
	v_add_co_u32 v76, vcc_lo, 0x4470, v86
	v_add_co_ci_u32_e32 v77, vcc_lo, 0, v87, vcc_lo
	v_add_co_u32 v78, vcc_lo, 0x5000, v86
	v_add_co_ci_u32_e32 v79, vcc_lo, 0, v87, vcc_lo
	;; [unrolled: 2-line block ×4, first 2 shown]
	s_clause 0x3
	global_load_dwordx2 v[179:180], v[76:77], off offset:16
	global_load_dwordx4 v[80:83], v[78:79], off offset:1840
	global_load_dwordx4 v[76:79], v[88:89], off offset:496
	global_load_dwordx2 v[181:182], v[90:91], off offset:16
	v_add_co_u32 v88, vcc_lo, 0x5730, v86
	v_add_co_ci_u32_e32 v89, vcc_lo, 0, v87, vcc_lo
	v_add_co_u32 v86, vcc_lo, 0x69f0, v86
	v_add_co_ci_u32_e32 v87, vcc_lo, 0, v87, vcc_lo
	s_clause 0x1
	global_load_dwordx2 v[177:178], v[88:89], off offset:16
	global_load_dwordx2 v[175:176], v[86:87], off offset:16
	ds_read2_b64 v[86:89], v191 offset0:16 offset1:216
	ds_read2_b64 v[90:93], v192 offset0:48 offset1:248
	ds_read2_b64 v[94:97], v185 offset1:200
	ds_read2_b64 v[98:101], v186 offset0:32 offset1:232
	ds_read2_b64 v[102:105], v188 offset1:200
	ds_read2_b64 v[106:109], v189 offset0:48 offset1:248
	ds_read2_b64 v[110:113], v187 offset0:16 offset1:216
	ds_read2_b64 v[114:117], v184 offset1:200
	ds_read2_b64 v[118:121], v190 offset0:32 offset1:232
	s_waitcnt vmcnt(9) lgkmcnt(8)
	v_mul_f32_e32 v122, v87, v75
	v_mul_f32_e32 v123, v86, v75
	s_waitcnt vmcnt(8)
	v_mul_f32_e32 v208, v89, v71
	v_mul_f32_e32 v209, v88, v71
	s_waitcnt lgkmcnt(7)
	v_mul_f32_e32 v210, v91, v69
	s_waitcnt vmcnt(6)
	v_mul_f32_e32 v212, v93, v65
	s_waitcnt lgkmcnt(6)
	v_mul_f32_e32 v214, v95, v174
	s_waitcnt lgkmcnt(0)
	v_mul_f32_e32 v235, v121, v73
	v_mul_f32_e32 v211, v90, v69
	v_mul_f32_e32 v215, v94, v174
	v_mul_f32_e32 v234, v120, v73
	v_mul_f32_e32 v213, v92, v65
	v_fma_f32 v86, v86, v74, -v122
	v_fmac_f32_e32 v123, v87, v74
	v_fma_f32 v87, v88, v70, -v208
	v_fmac_f32_e32 v209, v89, v70
	v_fma_f32 v122, v90, v68, -v210
	v_fma_f32 v208, v92, v64, -v212
	;; [unrolled: 1-line block ×3, first 2 shown]
	s_waitcnt vmcnt(3)
	v_mul_f32_e32 v229, v106, v79
	s_waitcnt vmcnt(2)
	v_mul_f32_e32 v226, v109, v182
	v_mul_f32_e32 v227, v108, v182
	v_fma_f32 v92, v120, v72, -v235
	v_mul_f32_e32 v218, v99, v67
	v_mul_f32_e32 v225, v104, v77
	v_fma_f32 v89, v108, v181, -v226
	v_fmac_f32_e32 v211, v91, v68
	v_fmac_f32_e32 v215, v95, v173
	;; [unrolled: 1-line block ×4, first 2 shown]
	s_waitcnt vmcnt(1)
	v_mul_f32_e32 v230, v111, v178
	v_mul_f32_e32 v228, v107, v79
	v_fmac_f32_e32 v213, v93, v64
	v_fmac_f32_e32 v229, v107, v78
	v_sub_f32_e32 v93, v114, v86
	v_sub_f32_e32 v107, v116, v87
	;; [unrolled: 1-line block ×4, first 2 shown]
	ds_read2_b64 v[86:89], v193 offset0:16 offset1:216
	v_mul_f32_e32 v216, v97, v180
	v_mul_f32_e32 v217, v96, v180
	;; [unrolled: 1-line block ×8, first 2 shown]
	s_waitcnt vmcnt(0)
	v_mul_f32_e32 v232, v113, v176
	v_fma_f32 v212, v98, v66, -v218
	v_fmac_f32_e32 v225, v105, v76
	v_fma_f32 v105, v110, v177, -v230
	v_sub_f32_e32 v98, v115, v123
	v_sub_f32_e32 v108, v117, v209
	;; [unrolled: 1-line block ×4, first 2 shown]
	v_mul_f32_e32 v222, v103, v81
	v_mul_f32_e32 v233, v112, v176
	v_fma_f32 v210, v96, v179, -v216
	v_fmac_f32_e32 v217, v97, v179
	v_fmac_f32_e32 v219, v99, v66
	v_fma_f32 v214, v100, v82, -v220
	v_fmac_f32_e32 v221, v101, v82
	v_fmac_f32_e32 v223, v103, v80
	v_fma_f32 v103, v104, v76, -v224
	v_fma_f32 v104, v106, v78, -v228
	v_fmac_f32_e32 v231, v111, v177
	v_fma_f32 v106, v112, v175, -v232
	v_fma_f32 v99, v114, 2.0, -v93
	v_fma_f32 v100, v115, 2.0, -v98
	;; [unrolled: 1-line block ×4, first 2 shown]
	v_add_f32_e32 v91, v98, v95
	v_fma_f32 v95, v92, 2.0, -v95
	v_fma_f32 v96, v234, 2.0, -v94
	;; [unrolled: 1-line block ×4, first 2 shown]
	v_sub_f32_e32 v90, v93, v94
	v_sub_f32_e32 v94, v99, v95
	v_sub_f32_e32 v95, v100, v96
	v_sub_f32_e32 v96, v101, v97
	v_sub_f32_e32 v97, v111, v112
	v_fma_f32 v92, v93, 2.0, -v90
	v_fma_f32 v93, v98, 2.0, -v91
	;; [unrolled: 1-line block ×6, first 2 shown]
	ds_write_b64 v184, v[90:91] offset:24000
	ds_write_b64 v184, v[92:93] offset:8000
	;; [unrolled: 1-line block ×3, first 2 shown]
	ds_write2_b64 v184, v[98:99], v[100:101] offset1:200
	ds_write_b64 v184, v[96:97] offset:17600
	s_waitcnt lgkmcnt(5)
	v_sub_f32_e32 v96, v86, v212
	v_sub_f32_e32 v97, v213, v217
	v_fma_f32 v102, v102, v80, -v222
	v_sub_f32_e32 v98, v87, v219
	v_sub_f32_e32 v99, v208, v210
	;; [unrolled: 1-line block ×3, first 2 shown]
	v_add_f32_e32 v91, v108, v109
	v_sub_f32_e32 v94, v96, v97
	v_sub_f32_e32 v100, v88, v214
	v_add_f32_e32 v95, v98, v99
	v_fma_f32 v101, v87, 2.0, -v98
	v_sub_f32_e32 v105, v102, v105
	v_fma_f32 v87, v213, 2.0, -v97
	v_fma_f32 v92, v107, 2.0, -v90
	ds_write_b64 v184, v[90:91] offset:25600
	v_fma_f32 v90, v96, 2.0, -v94
	v_fma_f32 v96, v86, 2.0, -v96
	;; [unrolled: 1-line block ×3, first 2 shown]
	v_fmac_f32_e32 v233, v113, v175
	v_fma_f32 v93, v108, 2.0, -v91
	v_sub_f32_e32 v107, v89, v221
	v_fma_f32 v108, v88, 2.0, -v100
	v_fma_f32 v88, v102, 2.0, -v105
	;; [unrolled: 1-line block ×3, first 2 shown]
	v_sub_f32_e32 v87, v101, v87
	v_sub_f32_e32 v109, v223, v231
	;; [unrolled: 1-line block ×4, first 2 shown]
	ds_write2_b64 v192, v[92:93], v[90:91] offset0:48 offset1:248
	v_fma_f32 v91, v101, 2.0, -v87
	v_add_f32_e32 v97, v107, v105
	v_sub_f32_e32 v104, v118, v104
	v_sub_f32_e32 v105, v119, v229
	;; [unrolled: 1-line block ×4, first 2 shown]
	v_fma_f32 v110, v89, 2.0, -v107
	v_fma_f32 v89, v223, 2.0, -v109
	;; [unrolled: 1-line block ×3, first 2 shown]
	v_sub_f32_e32 v96, v100, v109
	v_fma_f32 v92, v108, 2.0, -v88
	v_fma_f32 v106, v118, 2.0, -v104
	;; [unrolled: 1-line block ×5, first 2 shown]
	v_sub_f32_e32 v89, v110, v89
	v_fma_f32 v98, v100, 2.0, -v96
	v_sub_f32_e32 v100, v104, v101
	v_add_f32_e32 v101, v105, v99
	v_sub_f32_e32 v102, v106, v102
	v_sub_f32_e32 v103, v108, v103
	v_fma_f32 v93, v110, 2.0, -v89
	v_add_nc_u32_e32 v208, 0x6a00, v184
	v_fma_f32 v99, v107, 2.0, -v97
	v_fma_f32 v104, v104, 2.0, -v100
	;; [unrolled: 1-line block ×5, first 2 shown]
	ds_write2_b64 v193, v[90:91], v[92:93] offset0:16 offset1:216
	ds_write2_b64 v186, v[86:87], v[88:89] offset0:32 offset1:232
	;; [unrolled: 1-line block ×3, first 2 shown]
	ds_write2_b64 v188, v[98:99], v[104:105] offset1:200
	ds_write_b64 v184, v[106:107] offset:6400
	ds_write_b64 v184, v[102:103] offset:22400
	v_add_co_u32 v86, vcc_lo, 0x7800, v84
	v_add_co_ci_u32_e32 v87, vcc_lo, 0, v85, vcc_lo
	ds_write_b64 v184, v[100:101] offset:30400
	s_waitcnt lgkmcnt(0)
	s_barrier
	buffer_gl0_inv
	global_load_dwordx2 v[88:89], v[86:87], off offset:1280
	v_add_co_u32 v86, vcc_lo, 0x8800, v84
	v_add_co_ci_u32_e32 v87, vcc_lo, 0, v85, vcc_lo
	v_add_co_u32 v90, vcc_lo, 0x7d00, v84
	v_add_co_ci_u32_e32 v91, vcc_lo, 0, v85, vcc_lo
	s_clause 0x2
	global_load_dwordx2 v[112:113], v[86:87], off offset:384
	global_load_dwordx2 v[114:115], v[86:87], off offset:1984
	;; [unrolled: 1-line block ×3, first 2 shown]
	v_add_co_u32 v86, vcc_lo, 0x9000, v84
	v_add_co_ci_u32_e32 v87, vcc_lo, 0, v85, vcc_lo
	v_add_co_u32 v90, vcc_lo, 0x9800, v84
	v_add_co_ci_u32_e32 v91, vcc_lo, 0, v85, vcc_lo
	;; [unrolled: 2-line block ×4, first 2 shown]
	s_clause 0x3
	global_load_dwordx2 v[116:117], v[90:91], off offset:1088
	global_load_dwordx2 v[118:119], v[86:87], off offset:1536
	;; [unrolled: 1-line block ×4, first 2 shown]
	v_add_co_u32 v86, vcc_lo, 0xb000, v84
	v_add_co_ci_u32_e32 v87, vcc_lo, 0, v85, vcc_lo
	v_add_co_u32 v90, vcc_lo, 0xb800, v84
	v_add_co_ci_u32_e32 v91, vcc_lo, 0, v85, vcc_lo
	;; [unrolled: 2-line block ×4, first 2 shown]
	s_clause 0x4
	global_load_dwordx2 v[209:210], v[94:95], off offset:1792
	global_load_dwordx2 v[211:212], v[86:87], off offset:1344
	;; [unrolled: 1-line block ×4, first 2 shown]
	global_load_dwordx2 v[217:218], v[98:99], off
	v_add_co_u32 v86, vcc_lo, 0xd000, v84
	v_add_co_ci_u32_e32 v87, vcc_lo, 0, v85, vcc_lo
	v_add_co_u32 v90, vcc_lo, 0xd800, v84
	v_add_co_ci_u32_e32 v91, vcc_lo, 0, v85, vcc_lo
	;; [unrolled: 2-line block ×3, first 2 shown]
	s_clause 0x4
	global_load_dwordx2 v[219:220], v[98:99], off offset:1600
	global_load_dwordx2 v[221:222], v[86:87], off offset:1152
	;; [unrolled: 1-line block ×5, first 2 shown]
	v_add_co_u32 v86, vcc_lo, 0xe800, v84
	v_add_co_ci_u32_e32 v87, vcc_lo, 0, v85, vcc_lo
	v_add_co_u32 v84, vcc_lo, 0xf000, v84
	v_add_co_ci_u32_e32 v85, vcc_lo, 0, v85, vcc_lo
	s_clause 0x1
	global_load_dwordx2 v[229:230], v[86:87], off offset:1408
	global_load_dwordx2 v[231:232], v[84:85], off offset:960
	ds_read2_b64 v[84:87], v184 offset1:200
	s_waitcnt vmcnt(19) lgkmcnt(0)
	v_mul_f32_e32 v91, v85, v89
	v_mul_f32_e32 v90, v84, v89
	v_fma_f32 v89, v84, v88, -v91
	v_fmac_f32_e32 v90, v85, v88
	s_waitcnt vmcnt(16)
	v_mul_f32_e32 v84, v87, v97
	ds_write_b64 v184, v[89:90]
	ds_read2_b64 v[88:91], v193 offset0:16 offset1:216
	ds_read2_b64 v[92:95], v190 offset0:32 offset1:232
	v_mul_f32_e32 v234, v86, v97
	v_fma_f32 v233, v86, v96, -v84
	v_fmac_f32_e32 v234, v87, v96
	ds_read2_b64 v[84:87], v192 offset0:48 offset1:248
	ds_read2_b64 v[96:99], v188 offset1:200
	ds_read2_b64 v[100:103], v191 offset0:16 offset1:216
	ds_read2_b64 v[104:107], v186 offset0:32 offset1:232
	;; [unrolled: 1-line block ×3, first 2 shown]
	s_waitcnt lgkmcnt(6)
	v_mul_f32_e32 v235, v89, v113
	v_mul_f32_e32 v236, v88, v113
	;; [unrolled: 1-line block ×4, first 2 shown]
	s_waitcnt vmcnt(14) lgkmcnt(5)
	v_mul_f32_e32 v115, v93, v119
	v_fma_f32 v235, v88, v112, -v235
	v_fmac_f32_e32 v236, v89, v112
	v_fma_f32 v237, v90, v114, -v113
	v_fmac_f32_e32 v238, v91, v114
	ds_read2_b64 v[88:91], v185 offset1:200
	v_fma_f32 v239, v92, v118, -v115
	ds_read2_b64 v[112:115], v187 offset0:16 offset1:216
	v_mul_f32_e32 v240, v92, v119
	v_mul_f32_e32 v249, v95, v117
	;; [unrolled: 1-line block ×3, first 2 shown]
	s_waitcnt vmcnt(13) lgkmcnt(6)
	v_mul_f32_e32 v92, v85, v121
	s_waitcnt vmcnt(11) lgkmcnt(5)
	v_mul_f32_e32 v117, v96, v210
	v_fmac_f32_e32 v240, v93, v118
	v_fma_f32 v118, v94, v116, -v249
	v_fmac_f32_e32 v119, v95, v116
	v_mul_f32_e32 v93, v84, v121
	v_mul_f32_e32 v95, v86, v123
	v_mul_f32_e32 v116, v97, v210
	v_mul_f32_e32 v94, v87, v123
	v_fma_f32 v92, v84, v120, -v92
	v_fmac_f32_e32 v93, v85, v120
	s_waitcnt vmcnt(10)
	v_mul_f32_e32 v84, v99, v212
	v_mul_f32_e32 v85, v98, v212
	v_fmac_f32_e32 v95, v87, v122
	s_waitcnt vmcnt(8) lgkmcnt(4)
	v_mul_f32_e32 v87, v100, v216
	v_mul_f32_e32 v121, v102, v214
	v_fma_f32 v116, v96, v209, -v116
	s_waitcnt vmcnt(7) lgkmcnt(3)
	v_mul_f32_e32 v96, v105, v218
	v_fmac_f32_e32 v117, v97, v209
	v_mul_f32_e32 v97, v104, v218
	v_mul_f32_e32 v120, v103, v214
	v_fma_f32 v94, v86, v122, -v94
	v_mul_f32_e32 v86, v101, v216
	v_fma_f32 v84, v98, v211, -v84
	s_waitcnt vmcnt(6)
	v_mul_f32_e32 v98, v107, v220
	v_fmac_f32_e32 v85, v99, v211
	v_mul_f32_e32 v99, v106, v220
	s_waitcnt vmcnt(5) lgkmcnt(2)
	v_mul_f32_e32 v122, v109, v222
	v_mul_f32_e32 v123, v108, v222
	s_waitcnt vmcnt(4)
	v_mul_f32_e32 v209, v111, v224
	v_fmac_f32_e32 v87, v101, v215
	v_mul_f32_e32 v101, v110, v224
	s_waitcnt vmcnt(3) lgkmcnt(1)
	v_mul_f32_e32 v211, v89, v226
	v_fmac_f32_e32 v121, v103, v213
	v_mul_f32_e32 v103, v88, v226
	v_fma_f32 v96, v104, v217, -v96
	v_fmac_f32_e32 v97, v105, v217
	s_waitcnt vmcnt(0) lgkmcnt(0)
	v_mul_f32_e32 v104, v115, v232
	v_mul_f32_e32 v105, v114, v232
	v_fma_f32 v120, v102, v213, -v120
	v_mul_f32_e32 v213, v91, v228
	v_mul_f32_e32 v210, v90, v228
	;; [unrolled: 1-line block ×4, first 2 shown]
	v_fma_f32 v86, v100, v215, -v86
	v_fma_f32 v98, v106, v219, -v98
	v_fmac_f32_e32 v99, v107, v219
	v_fma_f32 v122, v108, v221, -v122
	v_fmac_f32_e32 v123, v109, v221
	;; [unrolled: 2-line block ×7, first 2 shown]
	ds_write2_b64 v241, v[233:234], v[235:236] offset0:8 offset1:208
	ds_write2_b64 v242, v[237:238], v[239:240] offset0:24 offset1:224
	;; [unrolled: 1-line block ×9, first 2 shown]
	ds_write_b64 v184, v[104:105] offset:30400
	s_waitcnt lgkmcnt(0)
	s_barrier
	buffer_gl0_inv
	ds_read2_b64 v[88:91], v190 offset0:32 offset1:232
	ds_read2_b64 v[92:95], v188 offset1:200
	ds_read2_b64 v[100:103], v186 offset0:32 offset1:232
	ds_read2_b64 v[96:99], v185 offset1:200
	ds_read2_b64 v[104:107], v192 offset0:48 offset1:248
	ds_read2_b64 v[108:111], v191 offset0:16 offset1:216
	;; [unrolled: 1-line block ×4, first 2 shown]
	ds_read2_b64 v[84:87], v184 offset1:200
	ds_read2_b64 v[120:123], v193 offset0:16 offset1:216
	s_waitcnt lgkmcnt(0)
	s_barrier
	buffer_gl0_inv
	v_sub_f32_e32 v211, v89, v93
	v_add_f32_e32 v224, v92, v100
	v_sub_f32_e32 v212, v97, v101
	v_add_f32_e32 v228, v93, v101
	v_sub_f32_e32 v213, v104, v108
	v_sub_f32_e32 v215, v105, v109
	;; [unrolled: 1-line block ×4, first 2 shown]
	v_add_f32_e32 v217, v108, v116
	v_add_f32_e32 v218, v109, v117
	v_sub_f32_e32 v221, v105, v113
	v_add_f32_e32 v223, v84, v88
	v_add_f32_e32 v225, v85, v89
	;; [unrolled: 1-line block ×3, first 2 shown]
	v_sub_f32_e32 v229, v89, v97
	v_sub_f32_e32 v235, v93, v89
	;; [unrolled: 1-line block ×3, first 2 shown]
	v_add_f32_e32 v89, v89, v97
	v_add_f32_e32 v105, v105, v113
	v_sub_f32_e32 v209, v88, v92
	v_sub_f32_e32 v219, v104, v112
	v_add_f32_e32 v226, v120, v104
	v_sub_f32_e32 v231, v88, v96
	v_sub_f32_e32 v233, v92, v88
	;; [unrolled: 1-line block ×3, first 2 shown]
	v_add_f32_e32 v88, v88, v96
	v_add_f32_e32 v104, v104, v112
	v_add_f32_e32 v211, v211, v212
	v_add_f32_e32 v212, v213, v214
	v_add_f32_e32 v213, v215, v216
	v_fma_f32 v214, -0.5, v217, v120
	v_fma_f32 v216, -0.5, v218, v121
	v_sub_f32_e32 v220, v108, v116
	v_sub_f32_e32 v232, v92, v100
	v_add_f32_e32 v92, v223, v92
	v_fma_f32 v223, -0.5, v224, v84
	v_fma_f32 v224, -0.5, v228, v85
	;; [unrolled: 1-line block ×4, first 2 shown]
	v_sub_f32_e32 v222, v109, v117
	v_sub_f32_e32 v230, v93, v101
	v_add_f32_e32 v108, v226, v108
	v_fma_f32 v84, -0.5, v88, v84
	v_fma_f32 v88, -0.5, v104, v120
	v_fmamk_f32 v104, v219, 0x3f737871, v216
	v_fmamk_f32 v105, v221, 0xbf737871, v214
	v_sub_f32_e32 v240, v117, v113
	v_fmamk_f32 v121, v220, 0xbf737871, v89
	v_fmac_f32_e32 v89, 0x3f737871, v220
	v_sub_f32_e32 v210, v96, v100
	v_sub_f32_e32 v234, v100, v96
	;; [unrolled: 1-line block ×3, first 2 shown]
	v_add_f32_e32 v93, v225, v93
	v_add_f32_e32 v109, v227, v109
	;; [unrolled: 1-line block ×4, first 2 shown]
	v_fmamk_f32 v116, v230, 0x3f737871, v84
	v_fmac_f32_e32 v84, 0xbf737871, v230
	v_fmac_f32_e32 v104, 0x3f167918, v220
	;; [unrolled: 1-line block ×3, first 2 shown]
	v_add_f32_e32 v225, v239, v240
	v_fmamk_f32 v120, v222, 0x3f737871, v88
	v_fmac_f32_e32 v88, 0xbf737871, v222
	v_fmac_f32_e32 v121, 0x3f167918, v219
	v_fmac_f32_e32 v89, 0xbf167918, v219
	v_sub_f32_e32 v236, v101, v97
	v_add_f32_e32 v215, v233, v234
	v_add_f32_e32 v93, v93, v101
	;; [unrolled: 1-line block ×3, first 2 shown]
	v_fmamk_f32 v108, v229, 0xbf737871, v223
	v_fmamk_f32 v109, v231, 0x3f737871, v224
	v_add_f32_e32 v92, v92, v96
	v_add_f32_e32 v96, v100, v112
	v_fmac_f32_e32 v116, 0xbf167918, v229
	v_fmac_f32_e32 v84, 0x3f167918, v229
	;; [unrolled: 1-line block ×4, first 2 shown]
	v_add_f32_e32 v218, v237, v238
	v_fmamk_f32 v117, v232, 0xbf737871, v85
	v_fmac_f32_e32 v85, 0x3f737871, v232
	v_fmac_f32_e32 v120, 0xbf167918, v221
	v_fmac_f32_e32 v88, 0x3f167918, v221
	v_fmac_f32_e32 v121, 0x3e9e377a, v225
	v_fmac_f32_e32 v89, 0x3e9e377a, v225
	v_add_f32_e32 v241, v209, v210
	v_fmac_f32_e32 v224, 0xbf737871, v231
	v_fmac_f32_e32 v214, 0x3f737871, v221
	;; [unrolled: 1-line block ×4, first 2 shown]
	v_add_f32_e32 v209, v92, v96
	v_fmac_f32_e32 v116, 0x3e9e377a, v215
	v_fmac_f32_e32 v84, 0x3e9e377a, v215
	v_sub_f32_e32 v215, v92, v96
	v_mul_f32_e32 v92, 0xbf167918, v104
	v_mul_f32_e32 v96, 0x3f167918, v105
	v_add_f32_e32 v217, v235, v236
	v_add_f32_e32 v93, v93, v97
	;; [unrolled: 1-line block ×3, first 2 shown]
	v_fmac_f32_e32 v117, 0x3f167918, v231
	v_fmac_f32_e32 v85, 0xbf167918, v231
	;; [unrolled: 1-line block ×4, first 2 shown]
	v_mul_f32_e32 v100, 0xbf737871, v121
	v_mul_f32_e32 v101, 0x3e9e377a, v121
	;; [unrolled: 1-line block ×4, first 2 shown]
	v_fmac_f32_e32 v216, 0xbf737871, v219
	v_fmac_f32_e32 v224, 0xbf167918, v232
	;; [unrolled: 1-line block ×14, first 2 shown]
	v_add_f32_e32 v210, v93, v97
	v_fmac_f32_e32 v224, 0x3e9e377a, v211
	v_fmac_f32_e32 v214, 0x3e9e377a, v212
	v_add_f32_e32 v211, v108, v92
	v_add_f32_e32 v212, v109, v96
	;; [unrolled: 1-line block ×6, first 2 shown]
	v_fmac_f32_e32 v223, 0x3f737871, v229
	v_fmac_f32_e32 v216, 0x3e9e377a, v213
	ds_write_b128 v207, v[209:212]
	ds_write_b128 v207, v[217:220] offset:16
	v_sub_f32_e32 v218, v85, v89
	v_add_f32_e32 v85, v87, v91
	v_fmac_f32_e32 v223, 0x3f167918, v230
	v_mul_f32_e32 v113, 0xbf167918, v216
	v_mul_f32_e32 v121, 0xbf4f1bbd, v216
	v_sub_f32_e32 v210, v109, v96
	v_add_f32_e32 v85, v85, v95
	v_fmac_f32_e32 v223, 0x3e9e377a, v241
	v_fmac_f32_e32 v113, 0xbf4f1bbd, v214
	;; [unrolled: 1-line block ×3, first 2 shown]
	v_sub_f32_e32 v217, v84, v112
	v_add_f32_e32 v84, v86, v90
	v_add_f32_e32 v85, v85, v103
	v_add_f32_e32 v109, v123, v107
	v_sub_f32_e32 v216, v93, v97
	v_add_f32_e32 v213, v223, v113
	v_add_f32_e32 v214, v224, v121
	v_sub_f32_e32 v209, v108, v92
	v_sub_f32_e32 v212, v117, v101
	v_add_f32_e32 v84, v84, v94
	v_add_f32_e32 v88, v94, v102
	v_sub_f32_e32 v96, v95, v103
	v_sub_f32_e32 v89, v90, v94
	;; [unrolled: 1-line block ×3, first 2 shown]
	v_add_f32_e32 v93, v95, v103
	v_sub_f32_e32 v97, v94, v102
	v_sub_f32_e32 v94, v91, v95
	;; [unrolled: 1-line block ×4, first 2 shown]
	v_add_f32_e32 v105, v91, v99
	v_sub_f32_e32 v91, v99, v103
	v_sub_f32_e32 v103, v103, v99
	v_add_f32_e32 v85, v85, v99
	v_add_f32_e32 v99, v109, v111
	v_sub_f32_e32 v211, v116, v100
	v_sub_f32_e32 v219, v223, v113
	;; [unrolled: 1-line block ×3, first 2 shown]
	ds_write_b128 v207, v[213:216] offset:32
	ds_write_b128 v207, v[209:212] offset:48
	;; [unrolled: 1-line block ×3, first 2 shown]
	v_add_f32_e32 v100, v90, v98
	v_sub_f32_e32 v117, v107, v111
	v_add_f32_e32 v99, v99, v119
	v_sub_f32_e32 v209, v115, v119
	v_add_f32_e32 v84, v84, v102
	v_add_f32_e32 v108, v122, v106
	v_sub_f32_e32 v109, v111, v119
	v_add_f32_e32 v116, v111, v119
	v_sub_f32_e32 v111, v111, v107
	v_sub_f32_e32 v120, v107, v115
	v_add_f32_e32 v107, v107, v115
	v_sub_f32_e32 v119, v119, v115
	v_add_f32_e32 v99, v99, v115
	v_add_f32_e32 v115, v117, v209
	v_fma_f32 v117, -0.5, v88, v86
	v_fma_f32 v86, -0.5, v100, v86
	v_sub_f32_e32 v104, v90, v98
	v_sub_f32_e32 v90, v98, v102
	v_sub_f32_e32 v102, v102, v98
	v_add_f32_e32 v84, v84, v98
	v_add_f32_e32 v98, v108, v110
	;; [unrolled: 1-line block ×3, first 2 shown]
	v_sub_f32_e32 v112, v106, v110
	v_sub_f32_e32 v113, v110, v106
	;; [unrolled: 1-line block ×3, first 2 shown]
	v_add_f32_e32 v121, v106, v114
	v_sub_f32_e32 v207, v114, v118
	v_fma_f32 v116, -0.5, v116, v123
	v_fmac_f32_e32 v123, -0.5, v107
	v_fmamk_f32 v107, v96, 0x3f737871, v86
	v_fmac_f32_e32 v86, 0xbf737871, v96
	v_fma_f32 v108, -0.5, v108, v122
	v_sub_f32_e32 v106, v106, v114
	v_add_f32_e32 v112, v112, v207
	v_fma_f32 v207, -0.5, v93, v87
	v_fmamk_f32 v93, v110, 0xbf737871, v123
	v_fma_f32 v100, -0.5, v121, v122
	v_add_f32_e32 v92, v92, v102
	v_fmac_f32_e32 v107, 0xbf167918, v101
	v_fmac_f32_e32 v86, 0x3f167918, v101
	v_add_f32_e32 v98, v98, v118
	v_fmamk_f32 v210, v120, 0xbf737871, v108
	v_sub_f32_e32 v118, v118, v114
	v_add_f32_e32 v213, v94, v91
	v_add_f32_e32 v94, v111, v119
	v_fmac_f32_e32 v107, 0x3e9e377a, v92
	v_fmac_f32_e32 v86, 0x3e9e377a, v92
	v_add_f32_e32 v92, v95, v103
	v_fmamk_f32 v95, v109, 0x3f737871, v100
	v_fmac_f32_e32 v93, 0x3f167918, v106
	v_add_f32_e32 v98, v98, v114
	v_fmamk_f32 v114, v106, 0x3f737871, v116
	v_fmac_f32_e32 v210, 0xbf167918, v109
	v_fmac_f32_e32 v123, 0x3f737871, v110
	v_fmac_f32_e32 v87, -0.5, v105
	v_add_f32_e32 v102, v113, v118
	v_fmac_f32_e32 v95, 0xbf167918, v120
	v_fmac_f32_e32 v93, 0x3e9e377a, v94
	;; [unrolled: 1-line block ×7, first 2 shown]
	v_fmamk_f32 v103, v97, 0xbf737871, v87
	v_fmac_f32_e32 v87, 0x3f737871, v97
	v_fmac_f32_e32 v95, 0x3e9e377a, v102
	v_mul_f32_e32 v105, 0xbf737871, v93
	v_fmac_f32_e32 v108, 0x3f737871, v120
	v_fmac_f32_e32 v116, 0xbf167918, v110
	;; [unrolled: 1-line block ×3, first 2 shown]
	v_fmamk_f32 v211, v101, 0xbf737871, v117
	v_fmamk_f32 v212, v104, 0x3f737871, v207
	v_mul_f32_e32 v215, 0x3f167918, v210
	v_fmac_f32_e32 v123, 0x3e9e377a, v94
	v_fmac_f32_e32 v100, 0x3f167918, v120
	;; [unrolled: 1-line block ×9, first 2 shown]
	v_add_f32_e32 v209, v89, v90
	v_mul_f32_e32 v214, 0xbf167918, v114
	v_fmac_f32_e32 v211, 0xbf167918, v96
	v_fmac_f32_e32 v212, 0x3f167918, v97
	;; [unrolled: 1-line block ×3, first 2 shown]
	v_mul_f32_e32 v111, 0xbf737871, v123
	v_mul_f32_e32 v114, 0xbe9e377a, v123
	v_fmac_f32_e32 v100, 0x3e9e377a, v102
	v_mul_f32_e32 v113, 0x3e9e377a, v93
	v_fmac_f32_e32 v103, 0x3e9e377a, v92
	v_fmac_f32_e32 v87, 0x3e9e377a, v92
	v_add_f32_e32 v92, v107, v105
	v_sub_f32_e32 v102, v107, v105
	v_fmac_f32_e32 v117, 0x3f167918, v96
	v_fmac_f32_e32 v108, 0x3e9e377a, v112
	v_mul_f32_e32 v104, 0xbf167918, v116
	v_fmac_f32_e32 v207, 0xbf167918, v97
	v_mul_f32_e32 v105, 0xbf4f1bbd, v116
	v_fmac_f32_e32 v214, 0x3f4f1bbd, v210
	v_fmac_f32_e32 v211, 0x3e9e377a, v209
	;; [unrolled: 1-line block ×10, first 2 shown]
	v_add_f32_e32 v88, v84, v98
	v_add_f32_e32 v90, v211, v214
	;; [unrolled: 1-line block ×7, first 2 shown]
	v_sub_f32_e32 v98, v84, v98
	v_sub_f32_e32 v99, v85, v99
	v_add_f32_e32 v96, v117, v104
	v_add_f32_e32 v97, v207, v105
	v_sub_f32_e32 v100, v211, v214
	v_sub_f32_e32 v101, v212, v215
	;; [unrolled: 1-line block ×7, first 2 shown]
	ds_write_b128 v201, v[88:91]
	ds_write_b128 v201, v[92:95] offset:16
	ds_write_b128 v201, v[96:99] offset:32
	;; [unrolled: 1-line block ×4, first 2 shown]
	s_waitcnt lgkmcnt(0)
	s_barrier
	buffer_gl0_inv
	ds_read2_b64 v[86:89], v193 offset0:16 offset1:216
	ds_read2_b64 v[90:93], v190 offset0:32 offset1:232
	;; [unrolled: 1-line block ×3, first 2 shown]
	ds_read2_b64 v[98:101], v188 offset1:200
	ds_read2_b64 v[102:105], v186 offset0:32 offset1:232
	s_waitcnt lgkmcnt(4)
	v_mul_f32_e32 v84, v61, v87
	v_mul_f32_e32 v61, v61, v86
	s_waitcnt lgkmcnt(3)
	v_mul_f32_e32 v85, v63, v91
	v_mul_f32_e32 v63, v63, v90
	v_fmac_f32_e32 v84, v60, v86
	v_fma_f32 v61, v60, v87, -v61
	v_mul_f32_e32 v60, v41, v89
	v_mul_f32_e32 v86, v41, v88
	v_fmac_f32_e32 v85, v62, v90
	v_mul_f32_e32 v41, v43, v93
	v_fma_f32 v62, v62, v91, -v63
	v_fmac_f32_e32 v60, v40, v88
	v_fma_f32 v40, v40, v89, -v86
	ds_read2_b64 v[87:90], v191 offset0:16 offset1:216
	v_mul_f32_e32 v91, v43, v92
	s_waitcnt lgkmcnt(3)
	v_mul_f32_e32 v43, v29, v95
	v_mul_f32_e32 v86, v29, v94
	v_fmac_f32_e32 v41, v42, v92
	s_waitcnt lgkmcnt(2)
	v_mul_f32_e32 v63, v31, v99
	v_fma_f32 v29, v42, v93, -v91
	v_mul_f32_e32 v42, v31, v98
	v_fmac_f32_e32 v43, v28, v94
	v_fma_f32 v31, v28, v95, -v86
	v_mul_f32_e32 v28, v17, v97
	v_mul_f32_e32 v86, v17, v96
	ds_read2_b64 v[91:94], v189 offset0:48 offset1:248
	v_fmac_f32_e32 v63, v30, v98
	v_fma_f32 v30, v30, v99, -v42
	v_fmac_f32_e32 v28, v16, v96
	v_fma_f32 v16, v16, v97, -v86
	ds_read2_b64 v[95:98], v185 offset1:200
	v_mul_f32_e32 v17, v19, v101
	v_mul_f32_e32 v42, v19, v100
	s_waitcnt lgkmcnt(2)
	v_mul_f32_e32 v19, v13, v88
	v_mul_f32_e32 v99, v13, v87
	;; [unrolled: 1-line block ×3, first 2 shown]
	v_fmac_f32_e32 v17, v18, v100
	v_fma_f32 v13, v18, v101, -v42
	v_mul_f32_e32 v18, v15, v102
	v_fmac_f32_e32 v19, v12, v87
	v_fma_f32 v15, v12, v88, -v99
	v_mul_f32_e32 v12, v9, v90
	v_mul_f32_e32 v9, v9, v89
	v_fmac_f32_e32 v86, v14, v102
	v_fma_f32 v42, v14, v103, -v18
	v_mul_f32_e32 v14, v11, v105
	v_mul_f32_e32 v18, v11, v104
	v_fmac_f32_e32 v12, v8, v89
	v_fma_f32 v11, v8, v90, -v9
	ds_read2_b64 v[99:102], v187 offset0:16 offset1:216
	s_waitcnt lgkmcnt(2)
	v_mul_f32_e32 v8, v5, v91
	v_fmac_f32_e32 v14, v10, v104
	v_mul_f32_e32 v87, v5, v92
	s_waitcnt lgkmcnt(1)
	v_mul_f32_e32 v89, v7, v96
	v_fma_f32 v5, v10, v105, -v18
	v_mul_f32_e32 v90, v7, v95
	v_fma_f32 v88, v4, v92, -v8
	ds_read2_b64 v[7:10], v184 offset1:200
	v_fmac_f32_e32 v89, v6, v95
	v_mul_f32_e32 v18, v3, v98
	v_mul_f32_e32 v3, v3, v97
	v_fmac_f32_e32 v87, v4, v91
	v_fma_f32 v95, v6, v96, -v90
	v_sub_f32_e32 v90, v85, v63
	v_fmac_f32_e32 v18, v2, v97
	v_fma_f32 v3, v2, v98, -v3
	v_sub_f32_e32 v91, v89, v86
	v_mul_f32_e32 v4, v1, v94
	v_mul_f32_e32 v1, v1, v93
	s_waitcnt lgkmcnt(1)
	v_mul_f32_e32 v2, v166, v99
	v_mul_f32_e32 v6, v168, v101
	v_add_f32_e32 v97, v61, v31
	v_fmac_f32_e32 v4, v0, v93
	v_fma_f32 v0, v0, v94, -v1
	v_fma_f32 v96, v165, v100, -v2
	;; [unrolled: 1-line block ×3, first 2 shown]
	v_add_f32_e32 v6, v90, v91
	s_waitcnt lgkmcnt(0)
	v_add_f32_e32 v91, v7, v85
	v_mul_f32_e32 v94, v166, v100
	v_add_f32_e32 v100, v15, v88
	v_mul_f32_e32 v1, v168, v102
	v_add_f32_e32 v92, v8, v62
	v_add_f32_e32 v91, v91, v63
	v_fmac_f32_e32 v94, v165, v99
	v_add_f32_e32 v93, v84, v43
	v_fma_f32 v100, -0.5, v100, v61
	v_add_f32_e32 v92, v92, v30
	v_add_f32_e32 v91, v91, v86
	v_sub_f32_e32 v103, v43, v94
	v_add_f32_e32 v93, v93, v19
	v_add_f32_e32 v97, v97, v15
	v_sub_f32_e32 v104, v31, v15
	v_add_f32_e32 v102, v91, v89
	v_add_f32_e32 v91, v19, v87
	v_sub_f32_e32 v105, v96, v88
	v_sub_f32_e32 v107, v31, v96
	v_fmamk_f32 v108, v103, 0x3f737871, v100
	v_sub_f32_e32 v109, v19, v87
	v_fma_f32 v106, -0.5, v91, v84
	v_fmac_f32_e32 v1, v167, v101
	v_sub_f32_e32 v99, v43, v19
	v_add_f32_e32 v92, v92, v42
	v_add_f32_e32 v93, v93, v87
	v_add_f32_e32 v97, v97, v88
	v_sub_f32_e32 v101, v94, v87
	v_add_f32_e32 v104, v104, v105
	v_fmamk_f32 v105, v107, 0xbf737871, v106
	v_sub_f32_e32 v111, v15, v88
	v_fmac_f32_e32 v108, 0x3f167918, v109
	v_sub_f32_e32 v90, v62, v30
	v_sub_f32_e32 v98, v95, v42
	v_add_f32_e32 v110, v92, v95
	v_add_f32_e32 v92, v93, v94
	;; [unrolled: 1-line block ×4, first 2 shown]
	v_fmac_f32_e32 v105, 0xbf167918, v111
	v_fmac_f32_e32 v108, 0x3e9e377a, v104
	v_add_f32_e32 v98, v90, v98
	v_add_f32_e32 v90, v102, v92
	v_sub_f32_e32 v92, v102, v92
	v_fmac_f32_e32 v105, 0x3e9e377a, v97
	v_mul_f32_e32 v99, 0xbf167918, v108
	v_mul_f32_e32 v102, 0x3f4f1bbd, v108
	v_add_f32_e32 v101, v85, v89
	v_sub_f32_e32 v112, v62, v95
	v_add_f32_e32 v113, v63, v86
	v_fmac_f32_e32 v99, 0x3f4f1bbd, v105
	v_fmac_f32_e32 v102, 0x3f167918, v105
	v_sub_f32_e32 v105, v85, v89
	v_sub_f32_e32 v85, v63, v85
	;; [unrolled: 1-line block ×5, first 2 shown]
	v_add_f32_e32 v62, v62, v95
	v_fma_f32 v101, -0.5, v101, v7
	v_add_f32_e32 v85, v85, v89
	v_sub_f32_e32 v89, v42, v95
	v_sub_f32_e32 v108, v30, v42
	v_add_f32_e32 v30, v30, v42
	v_add_f32_e32 v91, v110, v93
	v_sub_f32_e32 v93, v110, v93
	v_add_f32_e32 v42, v86, v89
	v_fma_f32 v89, -0.5, v62, v8
	v_add_f32_e32 v62, v31, v96
	v_fmamk_f32 v110, v108, 0x3f737871, v101
	v_fmac_f32_e32 v101, 0xbf737871, v108
	v_sub_f32_e32 v19, v19, v43
	v_add_f32_e32 v43, v43, v94
	v_fmac_f32_e32 v61, -0.5, v62
	v_fmac_f32_e32 v110, 0xbf167918, v112
	v_fmac_f32_e32 v101, 0x3f167918, v112
	v_sub_f32_e32 v15, v15, v31
	v_fmac_f32_e32 v84, -0.5, v43
	v_sub_f32_e32 v31, v88, v96
	v_fmamk_f32 v43, v109, 0xbf737871, v61
	v_fmac_f32_e32 v110, 0x3e9e377a, v85
	v_fmac_f32_e32 v101, 0x3e9e377a, v85
	v_sub_f32_e32 v85, v87, v94
	v_fmamk_f32 v62, v111, 0x3f737871, v84
	v_add_f32_e32 v15, v15, v31
	v_fmac_f32_e32 v43, 0x3f167918, v103
	v_fmac_f32_e32 v84, 0xbf737871, v111
	;; [unrolled: 1-line block ×3, first 2 shown]
	v_add_f32_e32 v19, v19, v85
	v_fmac_f32_e32 v62, 0xbf167918, v107
	v_fmac_f32_e32 v43, 0x3e9e377a, v15
	;; [unrolled: 1-line block ×6, first 2 shown]
	v_mul_f32_e32 v86, 0xbf737871, v43
	v_fmac_f32_e32 v84, 0x3e9e377a, v19
	v_fmac_f32_e32 v61, 0x3e9e377a, v15
	v_mul_f32_e32 v15, 0x3e9e377a, v43
	v_fma_f32 v19, -0.5, v113, v7
	v_fma_f32 v95, -0.5, v30, v8
	v_fmac_f32_e32 v106, 0x3f737871, v107
	v_fmac_f32_e32 v100, 0xbf167918, v109
	;; [unrolled: 1-line block ×3, first 2 shown]
	v_mul_f32_e32 v88, 0xbf737871, v61
	v_mul_f32_e32 v94, 0xbe9e377a, v61
	v_fmac_f32_e32 v15, 0x3f737871, v62
	v_fmamk_f32 v61, v112, 0xbf737871, v19
	v_fmamk_f32 v62, v105, 0x3f737871, v95
	;; [unrolled: 1-line block ×3, first 2 shown]
	v_fmac_f32_e32 v89, 0x3f737871, v63
	v_fmac_f32_e32 v19, 0x3f737871, v112
	v_fmac_f32_e32 v95, 0xbf737871, v105
	v_fmac_f32_e32 v106, 0x3f167918, v111
	v_fmac_f32_e32 v100, 0x3e9e377a, v104
	v_fmac_f32_e32 v61, 0xbf167918, v108
	v_fmac_f32_e32 v62, 0x3f167918, v63
	v_fmac_f32_e32 v87, 0x3f167918, v105
	v_fmac_f32_e32 v89, 0xbf167918, v105
	v_fmac_f32_e32 v19, 0x3f167918, v108
	v_fmac_f32_e32 v95, 0xbf167918, v63
	v_fmac_f32_e32 v106, 0x3e9e377a, v97
	v_mul_f32_e32 v63, 0xbf167918, v100
	v_mul_f32_e32 v96, 0xbf4f1bbd, v100
	v_fmac_f32_e32 v61, 0x3e9e377a, v6
	v_fmac_f32_e32 v62, 0x3e9e377a, v98
	;; [unrolled: 1-line block ×10, first 2 shown]
	v_add_f32_e32 v7, v61, v99
	v_add_f32_e32 v8, v62, v102
	;; [unrolled: 1-line block ×9, first 2 shown]
	v_sub_f32_e32 v61, v61, v99
	v_sub_f32_e32 v62, v62, v102
	;; [unrolled: 1-line block ×8, first 2 shown]
	s_barrier
	buffer_gl0_inv
	ds_write2_b64 v206, v[90:91], v[7:8] offset1:10
	ds_write2_b64 v206, v[30:31], v[42:43] offset0:20 offset1:30
	ds_write2_b64 v206, v[84:85], v[92:93] offset0:40 offset1:50
	;; [unrolled: 1-line block ×4, first 2 shown]
	v_sub_f32_e32 v15, v28, v12
	v_add_f32_e32 v19, v12, v4
	v_fma_f32 v30, -0.5, v6, v40
	v_sub_f32_e32 v31, v28, v1
	v_sub_f32_e32 v63, v1, v4
	;; [unrolled: 1-line block ×6, first 2 shown]
	v_fma_f32 v19, -0.5, v19, v60
	v_sub_f32_e32 v43, v16, v2
	v_fmamk_f32 v61, v31, 0x3f737871, v30
	v_sub_f32_e32 v62, v12, v4
	v_add_f32_e32 v15, v15, v63
	v_add_f32_e32 v63, v9, v41
	;; [unrolled: 1-line block ×3, first 2 shown]
	v_fmamk_f32 v6, v43, 0xbf737871, v19
	v_sub_f32_e32 v84, v11, v0
	v_fmac_f32_e32 v61, 0x3f167918, v62
	v_sub_f32_e32 v85, v29, v13
	v_sub_f32_e32 v86, v3, v5
	v_add_f32_e32 v87, v7, v8
	v_add_f32_e32 v7, v63, v17
	v_fmac_f32_e32 v6, 0xbf167918, v84
	v_fmac_f32_e32 v61, 0x3e9e377a, v42
	v_add_f32_e32 v85, v85, v86
	v_add_f32_e32 v86, v10, v29
	;; [unrolled: 1-line block ×3, first 2 shown]
	v_fmac_f32_e32 v6, 0x3e9e377a, v15
	v_mul_f32_e32 v63, 0xbf167918, v61
	v_mul_f32_e32 v61, 0x3f4f1bbd, v61
	v_add_f32_e32 v8, v17, v14
	v_add_f32_e32 v88, v7, v18
	;; [unrolled: 1-line block ×3, first 2 shown]
	v_fmac_f32_e32 v63, 0x3f4f1bbd, v6
	v_fmac_f32_e32 v61, 0x3f167918, v6
	v_fma_f32 v89, -0.5, v8, v9
	v_add_f32_e32 v6, v13, v5
	v_add_f32_e32 v8, v60, v28
	;; [unrolled: 1-line block ×4, first 2 shown]
	v_sub_f32_e32 v86, v29, v3
	v_fma_f32 v91, -0.5, v6, v10
	v_sub_f32_e32 v92, v41, v18
	v_sub_f32_e32 v94, v13, v5
	v_add_f32_e32 v6, v8, v12
	v_add_f32_e32 v8, v90, v11
	v_sub_f32_e32 v95, v17, v14
	v_add_f32_e32 v96, v7, v3
	v_add_f32_e32 v7, v41, v18
	v_sub_f32_e32 v14, v14, v18
	v_sub_f32_e32 v13, v13, v29
	v_add_f32_e32 v18, v29, v3
	v_sub_f32_e32 v3, v5, v3
	v_sub_f32_e32 v5, v12, v28
	v_add_f32_e32 v12, v16, v2
	v_add_f32_e32 v6, v6, v4
	;; [unrolled: 1-line block ×5, first 2 shown]
	v_fmac_f32_e32 v40, -0.5, v12
	v_add_f32_e32 v97, v6, v1
	v_add_f32_e32 v98, v8, v2
	v_fma_f32 v99, -0.5, v7, v9
	v_sub_f32_e32 v1, v4, v1
	v_fmac_f32_e32 v60, -0.5, v13
	v_sub_f32_e32 v4, v11, v16
	v_sub_f32_e32 v0, v0, v2
	v_fmamk_f32 v2, v62, 0xbf737871, v40
	v_fmac_f32_e32 v40, 0x3f737871, v62
	v_fmac_f32_e32 v30, 0xbf737871, v31
	v_sub_f32_e32 v9, v17, v41
	v_fmamk_f32 v17, v94, 0x3f737871, v99
	v_fmac_f32_e32 v99, 0xbf737871, v94
	v_fmac_f32_e32 v10, -0.5, v18
	v_fmamk_f32 v11, v84, 0x3f737871, v60
	v_add_f32_e32 v0, v4, v0
	v_fmac_f32_e32 v2, 0x3f167918, v31
	v_fmac_f32_e32 v60, 0xbf737871, v84
	;; [unrolled: 1-line block ×5, first 2 shown]
	v_fmamk_f32 v93, v86, 0xbf737871, v89
	v_fmamk_f32 v90, v92, 0x3f737871, v91
	v_add_f32_e32 v14, v9, v14
	v_fmac_f32_e32 v17, 0xbf167918, v86
	v_fmac_f32_e32 v99, 0x3f167918, v86
	v_fmamk_f32 v18, v95, 0xbf737871, v10
	v_fmac_f32_e32 v10, 0x3f737871, v95
	v_add_f32_e32 v1, v5, v1
	v_fmac_f32_e32 v11, 0xbf167918, v43
	v_fmac_f32_e32 v2, 0x3e9e377a, v0
	;; [unrolled: 1-line block ×15, first 2 shown]
	v_mul_f32_e32 v28, 0xbf737871, v2
	v_fmac_f32_e32 v60, 0x3e9e377a, v1
	v_mul_f32_e32 v29, 0x3e9e377a, v2
	v_mul_f32_e32 v13, 0xbf737871, v40
	;; [unrolled: 1-line block ×3, first 2 shown]
	v_fmac_f32_e32 v89, 0x3f167918, v94
	v_fmac_f32_e32 v91, 0xbf167918, v95
	;; [unrolled: 1-line block ×3, first 2 shown]
	v_mul_f32_e32 v31, 0xbf167918, v30
	v_mul_f32_e32 v30, 0xbf4f1bbd, v30
	v_fmac_f32_e32 v93, 0x3e9e377a, v87
	v_fmac_f32_e32 v90, 0x3e9e377a, v85
	;; [unrolled: 1-line block ×12, first 2 shown]
	v_add_f32_e32 v6, v88, v97
	v_add_f32_e32 v7, v96, v98
	;; [unrolled: 1-line block ×8, first 2 shown]
	v_sub_f32_e32 v4, v88, v97
	v_sub_f32_e32 v5, v96, v98
	v_add_f32_e32 v11, v89, v31
	v_add_f32_e32 v12, v91, v30
	v_sub_f32_e32 v15, v93, v63
	v_sub_f32_e32 v16, v90, v61
	;; [unrolled: 1-line block ×8, first 2 shown]
	ds_write2_b64 v199, v[6:7], v[8:9] offset1:10
	ds_write2_b64 v199, v[0:1], v[2:3] offset0:20 offset1:30
	ds_write2_b64 v199, v[11:12], v[4:5] offset0:40 offset1:50
	;; [unrolled: 1-line block ×4, first 2 shown]
	s_waitcnt lgkmcnt(0)
	s_barrier
	buffer_gl0_inv
	ds_read2_b64 v[1:4], v193 offset0:16 offset1:216
	ds_read2_b64 v[10:13], v190 offset0:32 offset1:232
	;; [unrolled: 1-line block ×3, first 2 shown]
	ds_read2_b64 v[60:63], v188 offset1:200
	ds_read2_b64 v[84:87], v186 offset0:32 offset1:232
	s_waitcnt lgkmcnt(4)
	v_mul_f32_e32 v6, v57, v2
	v_mul_f32_e32 v0, v57, v1
	s_waitcnt lgkmcnt(3)
	v_mul_f32_e32 v29, v59, v11
	v_mul_f32_e32 v5, v49, v3
	s_waitcnt lgkmcnt(2)
	v_mul_f32_e32 v30, v45, v15
	v_fmac_f32_e32 v6, v56, v1
	v_mul_f32_e32 v1, v59, v10
	v_fma_f32 v9, v56, v2, -v0
	v_fmac_f32_e32 v29, v58, v10
	v_mul_f32_e32 v0, v49, v4
	s_waitcnt lgkmcnt(1)
	v_mul_f32_e32 v41, v47, v61
	v_fma_f32 v28, v58, v11, -v1
	ds_read2_b64 v[56:59], v191 offset0:16 offset1:216
	v_fma_f32 v1, v48, v4, -v5
	v_mul_f32_e32 v4, v45, v14
	v_fmac_f32_e32 v0, v48, v3
	v_mul_f32_e32 v3, v51, v12
	v_mul_f32_e32 v7, v47, v60
	v_fmac_f32_e32 v30, v44, v14
	v_fma_f32 v40, v44, v15, -v4
	ds_read2_b64 v[42:45], v189 offset0:48 offset1:248
	v_fma_f32 v5, v50, v13, -v3
	v_fmac_f32_e32 v41, v46, v60
	v_fma_f32 v31, v46, v61, -v7
	v_mul_f32_e32 v3, v21, v17
	v_mul_f32_e32 v4, v21, v16
	ds_read2_b64 v[46:49], v185 offset1:200
	v_mul_f32_e32 v2, v51, v13
	v_mul_f32_e32 v7, v23, v63
	;; [unrolled: 1-line block ×3, first 2 shown]
	v_fmac_f32_e32 v3, v20, v16
	v_fma_f32 v4, v20, v17, -v4
	s_waitcnt lgkmcnt(2)
	v_mul_f32_e32 v20, v53, v57
	v_mul_f32_e32 v10, v53, v56
	v_fmac_f32_e32 v2, v50, v12
	v_fmac_f32_e32 v7, v22, v62
	v_fma_f32 v11, v22, v63, -v8
	v_mul_f32_e32 v12, v55, v84
	v_fmac_f32_e32 v20, v52, v56
	v_fma_f32 v22, v52, v57, -v10
	ds_read2_b64 v[50:53], v187 offset0:16 offset1:216
	v_mul_f32_e32 v16, v27, v87
	v_fma_f32 v21, v54, v85, -v12
	v_mul_f32_e32 v12, v27, v86
	s_waitcnt lgkmcnt(2)
	v_mul_f32_e32 v13, v33, v42
	v_mul_f32_e32 v23, v55, v85
	;; [unrolled: 1-line block ×4, first 2 shown]
	v_fmac_f32_e32 v16, v26, v86
	v_fma_f32 v17, v26, v87, -v12
	v_fma_f32 v26, v32, v43, -v13
	s_waitcnt lgkmcnt(1)
	v_mul_f32_e32 v12, v35, v46
	v_mul_f32_e32 v13, v37, v44
	v_fmac_f32_e32 v23, v54, v84
	v_fmac_f32_e32 v8, v24, v58
	v_mul_f32_e32 v25, v33, v43
	v_fma_f32 v10, v24, v59, -v10
	ds_read2_b64 v[54:57], v184 offset1:200
	v_fma_f32 v24, v34, v47, -v12
	v_fma_f32 v12, v36, v45, -v13
	v_mul_f32_e32 v13, v39, v48
	v_fmac_f32_e32 v25, v32, v42
	v_mul_f32_e32 v32, v35, v47
	v_mul_f32_e32 v15, v37, v45
	;; [unrolled: 1-line block ×3, first 2 shown]
	s_waitcnt lgkmcnt(1)
	v_mul_f32_e32 v14, v170, v53
	v_fma_f32 v18, v38, v49, -v13
	v_fmac_f32_e32 v32, v34, v46
	v_fmac_f32_e32 v15, v36, v44
	;; [unrolled: 1-line block ×3, first 2 shown]
	v_mul_f32_e32 v34, v170, v52
	v_fmac_f32_e32 v14, v169, v52
	v_sub_f32_e32 v36, v11, v5
	v_sub_f32_e32 v38, v17, v18
	v_mul_f32_e32 v27, v172, v51
	v_fma_f32 v13, v169, v53, -v34
	v_add_f32_e32 v34, v11, v17
	v_add_f32_e32 v35, v5, v18
	;; [unrolled: 1-line block ×3, first 2 shown]
	v_sub_f32_e32 v36, v8, v3
	v_sub_f32_e32 v38, v15, v14
	v_mul_f32_e32 v33, v172, v50
	v_fmac_f32_e32 v27, v171, v50
	s_waitcnt lgkmcnt(0)
	v_add_f32_e32 v37, v57, v5
	v_fma_f32 v34, -0.5, v34, v57
	v_fmac_f32_e32 v57, -0.5, v35
	v_add_f32_e32 v35, v8, v15
	v_add_f32_e32 v39, v3, v14
	;; [unrolled: 1-line block ×5, first 2 shown]
	v_fma_f32 v33, v171, v51, -v33
	v_add_f32_e32 v49, v0, v3
	v_fma_f32 v35, -0.5, v35, v0
	v_fmac_f32_e32 v0, -0.5, v39
	v_fma_f32 v51, -0.5, v42, v1
	v_sub_f32_e32 v38, v10, v4
	v_sub_f32_e32 v39, v12, v13
	v_add_f32_e32 v52, v1, v4
	v_fmac_f32_e32 v1, -0.5, v36
	v_sub_f32_e32 v58, v8, v15
	v_add_f32_e32 v42, v41, v23
	v_add_f32_e32 v53, v38, v39
	v_sub_f32_e32 v60, v10, v12
	v_sub_f32_e32 v62, v3, v14
	v_fmamk_f32 v61, v58, 0xbf737871, v1
	v_fmac_f32_e32 v1, 0x3f737871, v58
	v_add_f32_e32 v36, v31, v21
	v_add_f32_e32 v38, v28, v24
	v_fma_f32 v46, -0.5, v42, v54
	v_sub_f32_e32 v59, v7, v16
	v_fmamk_f32 v84, v60, 0x3f737871, v0
	v_fmac_f32_e32 v0, 0xbf737871, v60
	v_sub_f32_e32 v85, v4, v13
	v_fmac_f32_e32 v1, 0xbf167918, v62
	v_add_f32_e32 v42, v7, v16
	v_fma_f32 v47, -0.5, v36, v55
	v_fma_f32 v87, -0.5, v38, v55
	v_add_f32_e32 v36, v54, v29
	v_add_f32_e32 v38, v6, v30
	;; [unrolled: 1-line block ×3, first 2 shown]
	v_fmamk_f32 v63, v59, 0xbf737871, v57
	v_fmac_f32_e32 v57, 0x3f737871, v59
	v_sub_f32_e32 v86, v2, v19
	v_fmac_f32_e32 v0, 0x3f167918, v85
	v_fmac_f32_e32 v1, 0x3e9e377a, v53
	v_fma_f32 v88, -0.5, v42, v56
	v_add_f32_e32 v42, v2, v19
	v_add_f32_e32 v44, v55, v28
	;; [unrolled: 1-line block ×5, first 2 shown]
	v_fma_f32 v39, -0.5, v43, v54
	v_fmac_f32_e32 v57, 0xbf167918, v86
	v_fmac_f32_e32 v0, 0x3e9e377a, v50
	v_mul_f32_e32 v43, 0xbe9e377a, v1
	v_fma_f32 v54, -0.5, v42, v56
	v_add_f32_e32 v42, v44, v31
	v_add_f32_e32 v44, v45, v22
	;; [unrolled: 1-line block ×4, first 2 shown]
	v_fmac_f32_e32 v57, 0x3e9e377a, v48
	v_fmac_f32_e32 v43, 0x3f737871, v0
	v_add_f32_e32 v55, v56, v2
	v_add_f32_e32 v42, v42, v21
	;; [unrolled: 1-line block ×8, first 2 shown]
	v_sub_f32_e32 v38, v57, v43
	v_add_f32_e32 v42, v45, v56
	v_sub_f32_e32 v57, v29, v41
	v_sub_f32_e32 v91, v32, v23
	;; [unrolled: 1-line block ×3, first 2 shown]
	v_add_f32_e32 v56, v22, v26
	v_add_f32_e32 v43, v89, v90
	v_sub_f32_e32 v45, v89, v90
	v_add_f32_e32 v57, v57, v91
	v_add_f32_e32 v90, v20, v25
	v_fma_f32 v56, -0.5, v56, v9
	v_sub_f32_e32 v91, v30, v27
	v_sub_f32_e32 v92, v40, v22
	;; [unrolled: 1-line block ×3, first 2 shown]
	v_fma_f32 v90, -0.5, v90, v6
	v_sub_f32_e32 v94, v40, v33
	v_fmamk_f32 v95, v91, 0x3f737871, v56
	v_sub_f32_e32 v96, v20, v25
	v_sub_f32_e32 v89, v30, v20
	;; [unrolled: 1-line block ×3, first 2 shown]
	v_add_f32_e32 v92, v92, v93
	v_fmamk_f32 v93, v94, 0xbf737871, v90
	v_sub_f32_e32 v98, v22, v26
	v_fmac_f32_e32 v95, 0x3f167918, v96
	v_sub_f32_e32 v99, v28, v31
	v_sub_f32_e32 v100, v24, v21
	v_add_f32_e32 v89, v89, v97
	v_fmac_f32_e32 v93, 0xbf167918, v98
	v_fmac_f32_e32 v95, 0x3e9e377a, v92
	v_sub_f32_e32 v105, v41, v23
	v_add_f32_e32 v99, v99, v100
	v_sub_f32_e32 v100, v29, v32
	v_fmac_f32_e32 v93, 0x3e9e377a, v89
	v_mul_f32_e32 v101, 0xbf167918, v95
	v_sub_f32_e32 v29, v41, v29
	v_mul_f32_e32 v41, 0x3f4f1bbd, v95
	v_sub_f32_e32 v23, v23, v32
	v_add_f32_e32 v32, v40, v33
	v_fmac_f32_e32 v101, 0x3f4f1bbd, v93
	v_sub_f32_e32 v22, v22, v40
	v_fmac_f32_e32 v41, 0x3f167918, v93
	v_add_f32_e32 v93, v30, v27
	v_fmac_f32_e32 v9, -0.5, v32
	v_sub_f32_e32 v26, v26, v33
	v_sub_f32_e32 v20, v20, v30
	v_sub_f32_e32 v25, v25, v27
	v_fmac_f32_e32 v6, -0.5, v93
	v_fmamk_f32 v32, v96, 0xbf737871, v9
	v_fmac_f32_e32 v9, 0x3f737871, v96
	v_add_f32_e32 v22, v22, v26
	v_fmac_f32_e32 v56, 0xbf737871, v91
	v_fmamk_f32 v26, v98, 0x3f737871, v6
	v_fmac_f32_e32 v6, 0xbf737871, v98
	v_fmac_f32_e32 v9, 0xbf167918, v91
	v_sub_f32_e32 v97, v28, v24
	v_sub_f32_e32 v103, v31, v21
	v_fmac_f32_e32 v32, 0x3f167918, v91
	v_add_f32_e32 v30, v20, v25
	v_fmac_f32_e32 v6, 0x3f167918, v94
	v_fmac_f32_e32 v9, 0x3e9e377a, v22
	;; [unrolled: 1-line block ×4, first 2 shown]
	v_fmamk_f32 v102, v97, 0xbf737871, v46
	v_sub_f32_e32 v27, v31, v28
	v_sub_f32_e32 v21, v21, v24
	v_fmac_f32_e32 v26, 0xbf167918, v94
	v_fmac_f32_e32 v32, 0x3e9e377a, v22
	v_fmamk_f32 v28, v103, 0x3f737871, v39
	v_fmamk_f32 v33, v105, 0xbf737871, v87
	v_fmac_f32_e32 v39, 0xbf737871, v103
	v_fmac_f32_e32 v6, 0x3e9e377a, v30
	v_mul_f32_e32 v22, 0xbf737871, v9
	v_mul_f32_e32 v9, 0xbe9e377a, v9
	v_fmac_f32_e32 v46, 0x3f737871, v97
	v_fmac_f32_e32 v90, 0x3f167918, v98
	;; [unrolled: 1-line block ×3, first 2 shown]
	v_add_f32_e32 v29, v29, v23
	v_add_f32_e32 v31, v27, v21
	v_fmac_f32_e32 v26, 0x3e9e377a, v30
	v_mul_f32_e32 v27, 0xbf737871, v32
	v_fmac_f32_e32 v28, 0xbf167918, v97
	v_mul_f32_e32 v32, 0x3e9e377a, v32
	v_fmac_f32_e32 v33, 0x3f167918, v100
	v_fmac_f32_e32 v87, 0x3f737871, v105
	;; [unrolled: 1-line block ×7, first 2 shown]
	v_mul_f32_e32 v6, 0xbf167918, v56
	v_fmamk_f32 v104, v100, 0x3f737871, v47
	v_fmac_f32_e32 v27, 0x3e9e377a, v26
	v_fmac_f32_e32 v28, 0x3e9e377a, v29
	;; [unrolled: 1-line block ×9, first 2 shown]
	v_add_f32_e32 v25, v28, v27
	v_add_f32_e32 v26, v33, v32
	v_sub_f32_e32 v27, v28, v27
	v_sub_f32_e32 v28, v33, v32
	v_fmac_f32_e32 v87, 0x3e9e377a, v31
	v_fmac_f32_e32 v47, 0xbf167918, v105
	v_mul_f32_e32 v33, 0xbf4f1bbd, v56
	v_add_f32_e32 v29, v39, v22
	v_sub_f32_e32 v31, v39, v22
	v_add_f32_e32 v39, v46, v6
	v_sub_f32_e32 v46, v46, v6
	v_add_f32_e32 v6, v55, v7
	v_fmac_f32_e32 v47, 0x3e9e377a, v99
	v_fmac_f32_e32 v33, 0x3f167918, v90
	v_sub_f32_e32 v22, v2, v7
	v_sub_f32_e32 v55, v11, v17
	v_add_f32_e32 v6, v6, v16
	v_sub_f32_e32 v2, v7, v2
	v_sub_f32_e32 v7, v16, v19
	v_add_f32_e32 v30, v87, v9
	v_sub_f32_e32 v32, v87, v9
	v_add_f32_e32 v40, v47, v33
	v_sub_f32_e32 v9, v5, v18
	v_sub_f32_e32 v47, v47, v33
	;; [unrolled: 1-line block ×3, first 2 shown]
	v_add_f32_e32 v6, v6, v19
	v_fmamk_f32 v16, v55, 0x3f737871, v54
	v_fmac_f32_e32 v54, 0xbf737871, v55
	v_add_f32_e32 v2, v2, v7
	v_add_f32_e32 v7, v37, v11
	v_sub_f32_e32 v5, v5, v11
	v_sub_f32_e32 v11, v18, v17
	v_fmamk_f32 v19, v86, 0x3f737871, v34
	v_fmac_f32_e32 v34, 0xbf737871, v86
	v_fmac_f32_e32 v104, 0x3f167918, v105
	;; [unrolled: 1-line block ×4, first 2 shown]
	v_add_f32_e32 v5, v5, v11
	v_fmac_f32_e32 v19, 0x3f167918, v59
	v_fmac_f32_e32 v34, 0xbf167918, v59
	;; [unrolled: 1-line block ×7, first 2 shown]
	v_add_f32_e32 v2, v49, v8
	v_sub_f32_e32 v3, v3, v8
	v_sub_f32_e32 v5, v14, v15
	v_add_f32_e32 v24, v104, v41
	v_sub_f32_e32 v21, v104, v41
	v_fmamk_f32 v41, v9, 0xbf737871, v88
	v_fmac_f32_e32 v88, 0x3f737871, v9
	v_add_f32_e32 v2, v2, v15
	v_add_f32_e32 v3, v3, v5
	v_sub_f32_e32 v4, v4, v10
	v_sub_f32_e32 v5, v13, v12
	v_fmamk_f32 v9, v62, 0x3f737871, v51
	v_fmac_f32_e32 v51, 0xbf737871, v62
	v_fmamk_f32 v8, v85, 0xbf737871, v35
	v_fmac_f32_e32 v35, 0x3f737871, v85
	v_add_f32_e32 v11, v2, v14
	v_add_f32_e32 v2, v52, v10
	;; [unrolled: 1-line block ×3, first 2 shown]
	v_fmac_f32_e32 v9, 0x3f167918, v58
	v_fmac_f32_e32 v61, 0x3f167918, v62
	;; [unrolled: 1-line block ×6, first 2 shown]
	v_add_f32_e32 v2, v2, v12
	v_fmac_f32_e32 v9, 0x3e9e377a, v4
	v_fmac_f32_e32 v61, 0x3e9e377a, v53
	;; [unrolled: 1-line block ×4, first 2 shown]
	v_add_f32_e32 v22, v22, v33
	v_fmac_f32_e32 v41, 0xbf167918, v55
	v_fmac_f32_e32 v88, 0x3f167918, v55
	v_add_f32_e32 v7, v7, v17
	v_fmac_f32_e32 v63, 0x3f167918, v86
	v_fmac_f32_e32 v8, 0x3e9e377a, v3
	;; [unrolled: 1-line block ×4, first 2 shown]
	v_add_f32_e32 v3, v2, v13
	v_mul_f32_e32 v10, 0xbf167918, v9
	v_mul_f32_e32 v1, 0xbf737871, v1
	;; [unrolled: 1-line block ×7, first 2 shown]
	v_fmac_f32_e32 v102, 0x3e9e377a, v57
	v_fmac_f32_e32 v41, 0x3e9e377a, v22
	;; [unrolled: 1-line block ×3, first 2 shown]
	v_add_f32_e32 v7, v7, v18
	v_fmac_f32_e32 v63, 0x3e9e377a, v48
	v_fmac_f32_e32 v10, 0x3f4f1bbd, v8
	;; [unrolled: 1-line block ×8, first 2 shown]
	v_add_f32_e32 v23, v102, v101
	v_sub_f32_e32 v20, v102, v101
	v_add_f32_e32 v0, v6, v11
	v_add_f32_e32 v2, v41, v10
	;; [unrolled: 1-line block ×3, first 2 shown]
	v_sub_f32_e32 v37, v54, v1
	v_add_f32_e32 v4, v16, v12
	v_add_f32_e32 v1, v7, v3
	v_sub_f32_e32 v6, v6, v11
	v_sub_f32_e32 v7, v7, v3
	v_add_f32_e32 v8, v88, v14
	v_add_f32_e32 v3, v19, v13
	;; [unrolled: 1-line block ×4, first 2 shown]
	v_sub_f32_e32 v10, v41, v10
	v_sub_f32_e32 v12, v16, v12
	;; [unrolled: 1-line block ×6, first 2 shown]
	s_barrier
	buffer_gl0_inv
	ds_write2_b64 v194, v[42:43], v[23:24] offset1:100
	ds_write2_b64 v195, v[25:26], v[29:30] offset0:72 offset1:172
	ds_write2_b64 v196, v[39:40], v[44:45] offset0:144 offset1:244
	;; [unrolled: 1-line block ×4, first 2 shown]
	ds_write2_b64 v200, v[0:1], v[2:3] offset1:100
	ds_write2_b64 v202, v[4:5], v[35:36] offset0:72 offset1:172
	ds_write2_b64 v203, v[8:9], v[6:7] offset0:144 offset1:244
	;; [unrolled: 1-line block ×4, first 2 shown]
	s_waitcnt lgkmcnt(0)
	s_barrier
	buffer_gl0_inv
	ds_read2_b64 v[0:3], v190 offset0:32 offset1:232
	ds_read2_b64 v[4:7], v191 offset0:16 offset1:216
	;; [unrolled: 1-line block ×4, first 2 shown]
	ds_read2_b64 v[16:19], v184 offset1:200
	ds_read2_b64 v[20:23], v185 offset1:200
	ds_read2_b64 v[24:27], v193 offset0:16 offset1:216
	ds_read2_b64 v[28:31], v186 offset0:32 offset1:232
	ds_read2_b64 v[32:35], v188 offset1:200
	ds_read2_b64 v[36:39], v187 offset0:16 offset1:216
	s_waitcnt lgkmcnt(9)
	v_mul_f32_e32 v40, v73, v3
	v_mul_f32_e32 v41, v73, v2
	s_waitcnt lgkmcnt(8)
	v_mul_f32_e32 v42, v75, v5
	s_waitcnt lgkmcnt(6)
	v_mul_f32_e32 v43, v69, v13
	v_mul_f32_e32 v44, v69, v12
	v_fmac_f32_e32 v40, v72, v2
	v_fma_f32 v2, v72, v3, -v41
	v_fmac_f32_e32 v42, v74, v4
	v_mul_f32_e32 v3, v75, v4
	v_mul_f32_e32 v4, v182, v11
	;; [unrolled: 1-line block ×3, first 2 shown]
	v_fmac_f32_e32 v43, v68, v12
	v_mul_f32_e32 v12, v71, v6
	v_fma_f32 v3, v74, v5, -v3
	v_fmac_f32_e32 v4, v181, v10
	v_fma_f32 v5, v181, v11, -v41
	v_fma_f32 v10, v68, v13, -v44
	v_mul_f32_e32 v11, v71, v7
	s_waitcnt lgkmcnt(4)
	v_mul_f32_e32 v13, v174, v21
	v_mul_f32_e32 v41, v174, v20
	;; [unrolled: 1-line block ×3, first 2 shown]
	v_sub_f32_e32 v5, v2, v5
	v_fmac_f32_e32 v11, v70, v6
	v_fma_f32 v6, v70, v7, -v12
	v_fmac_f32_e32 v13, v173, v20
	v_fma_f32 v7, v173, v21, -v41
	v_fmac_f32_e32 v44, v64, v14
	v_mul_f32_e32 v12, v65, v14
	s_waitcnt lgkmcnt(2)
	v_mul_f32_e32 v14, v67, v29
	v_mul_f32_e32 v20, v67, v28
	;; [unrolled: 1-line block ×4, first 2 shown]
	v_fma_f32 v45, v64, v15, -v12
	v_fmac_f32_e32 v14, v66, v28
	v_fma_f32 v15, v66, v29, -v20
	v_fmac_f32_e32 v21, v179, v22
	v_fma_f32 v20, v179, v23, -v41
	s_waitcnt lgkmcnt(1)
	v_mul_f32_e32 v22, v81, v33
	v_mul_f32_e32 v12, v81, v32
	;; [unrolled: 1-line block ×4, first 2 shown]
	s_waitcnt lgkmcnt(0)
	v_mul_f32_e32 v29, v178, v37
	v_fmac_f32_e32 v22, v80, v32
	v_fma_f32 v32, v80, v33, -v12
	v_fmac_f32_e32 v23, v82, v30
	v_fma_f32 v28, v82, v31, -v28
	v_fmac_f32_e32 v29, v177, v36
	v_mul_f32_e32 v12, v178, v36
	v_mul_f32_e32 v31, v77, v35
	v_mul_f32_e32 v30, v77, v34
	v_mul_f32_e32 v33, v79, v9
	v_mul_f32_e32 v36, v79, v8
	v_fma_f32 v37, v177, v37, -v12
	v_fmac_f32_e32 v31, v76, v34
	v_fma_f32 v34, v76, v35, -v30
	v_fmac_f32_e32 v33, v78, v8
	v_fma_f32 v30, v78, v9, -v36
	v_sub_f32_e32 v12, v16, v42
	v_sub_f32_e32 v8, v40, v4
	;; [unrolled: 1-line block ×3, first 2 shown]
	v_mul_f32_e32 v35, v176, v39
	v_mul_f32_e32 v4, v176, v38
	v_fma_f32 v9, v16, 2.0, -v12
	v_fma_f32 v3, v40, 2.0, -v8
	v_fma_f32 v16, v17, 2.0, -v36
	v_sub_f32_e32 v17, v18, v11
	v_sub_f32_e32 v40, v43, v13
	v_fmac_f32_e32 v35, v175, v38
	v_fma_f32 v38, v175, v39, -v4
	v_fma_f32 v4, v2, 2.0, -v5
	v_sub_f32_e32 v39, v19, v6
	v_sub_f32_e32 v41, v10, v7
	v_fma_f32 v13, v18, 2.0, -v17
	v_fma_f32 v11, v43, 2.0, -v40
	v_sub_f32_e32 v7, v36, v8
	v_sub_f32_e32 v2, v9, v3
	;; [unrolled: 1-line block ×3, first 2 shown]
	v_fma_f32 v10, v10, 2.0, -v41
	v_sub_f32_e32 v8, v13, v11
	v_fma_f32 v11, v36, 2.0, -v7
	v_sub_f32_e32 v36, v24, v14
	v_sub_f32_e32 v21, v44, v21
	v_add_f32_e32 v14, v17, v41
	v_sub_f32_e32 v41, v25, v15
	v_sub_f32_e32 v42, v45, v20
	;; [unrolled: 1-line block ×4, first 2 shown]
	v_fma_f32 v18, v19, 2.0, -v39
	v_add_f32_e32 v6, v12, v5
	v_fma_f32 v5, v16, 2.0, -v3
	v_fma_f32 v20, v24, 2.0, -v36
	;; [unrolled: 1-line block ×4, first 2 shown]
	v_sub_f32_e32 v39, v26, v23
	v_sub_f32_e32 v43, v27, v28
	v_fma_f32 v24, v22, 2.0, -v40
	v_add_f32_e32 v22, v36, v42
	v_sub_f32_e32 v23, v41, v21
	v_fma_f32 v4, v9, 2.0, -v2
	v_sub_f32_e32 v9, v18, v10
	v_fma_f32 v25, v25, 2.0, -v41
	v_fma_f32 v19, v45, 2.0, -v42
	;; [unrolled: 1-line block ×3, first 2 shown]
	v_sub_f32_e32 v29, v32, v37
	v_fma_f32 v37, v27, 2.0, -v43
	v_fma_f32 v26, v36, 2.0, -v22
	;; [unrolled: 1-line block ×3, first 2 shown]
	v_sub_f32_e32 v41, v0, v33
	v_sub_f32_e32 v42, v1, v30
	;; [unrolled: 1-line block ×4, first 2 shown]
	v_fma_f32 v10, v12, 2.0, -v6
	v_fma_f32 v12, v13, 2.0, -v8
	;; [unrolled: 1-line block ×4, first 2 shown]
	v_sub_f32_e32 v19, v25, v19
	v_fma_f32 v32, v32, 2.0, -v29
	v_fma_f32 v38, v0, 2.0, -v41
	;; [unrolled: 1-line block ×5, first 2 shown]
	v_add_f32_e32 v30, v39, v29
	v_sub_f32_e32 v31, v43, v40
	v_sub_f32_e32 v18, v20, v18
	;; [unrolled: 1-line block ×3, first 2 shown]
	v_fma_f32 v21, v25, 2.0, -v19
	v_sub_f32_e32 v25, v37, v32
	v_sub_f32_e32 v32, v38, v1
	;; [unrolled: 1-line block ×3, first 2 shown]
	v_add_f32_e32 v34, v41, v36
	v_sub_f32_e32 v35, v42, v35
	v_fma_f32 v0, v39, 2.0, -v30
	v_fma_f32 v1, v43, 2.0, -v31
	;; [unrolled: 1-line block ×9, first 2 shown]
	ds_write_b64 v184, v[10:11] offset:8000
	ds_write_b64 v184, v[2:3] offset:16000
	;; [unrolled: 1-line block ×3, first 2 shown]
	ds_write2_b64 v184, v[4:5], v[12:13] offset1:200
	ds_write_b64 v184, v[8:9] offset:17600
	ds_write_b64 v184, v[14:15] offset:25600
	ds_write2_b64 v192, v[16:17], v[26:27] offset0:48 offset1:248
	ds_write2_b64 v193, v[20:21], v[28:29] offset0:16 offset1:216
	;; [unrolled: 1-line block ×4, first 2 shown]
	ds_write_b64 v184, v[36:37] offset:6400
	ds_write2_b64 v188, v[0:1], v[38:39] offset1:200
	ds_write_b64 v184, v[32:33] offset:22400
	ds_write_b64 v184, v[34:35] offset:30400
	s_waitcnt lgkmcnt(0)
	s_barrier
	buffer_gl0_inv
	ds_read2_b64 v[0:3], v184 offset1:200
	v_mad_u64_u32 v[16:17], null, s2, v128, 0
	v_mad_u64_u32 v[20:21], null, s0, v183, 0
	v_mov_b32_e32 v10, v17
	v_mad_u64_u32 v[12:13], null, s3, v128, v[10:11]
	s_load_dwordx2 s[2:3], s[4:5], 0x38
	s_waitcnt lgkmcnt(0)
	v_mul_f32_e32 v4, v158, v1
	v_mul_f32_e32 v5, v158, v0
	v_mov_b32_e32 v17, v12
	v_fmac_f32_e32 v4, v157, v0
	v_fma_f32 v5, v157, v1, -v5
	v_lshlrev_b64 v[16:17], 3, v[16:17]
	v_cvt_f64_f32_e32 v[0:1], v4
	v_cvt_f64_f32_e32 v[8:9], v5
	ds_read2_b64 v[4:7], v193 offset0:16 offset1:216
	s_waitcnt lgkmcnt(0)
	v_mul_f32_e32 v14, v164, v4
	v_mul_f32_e32 v13, v164, v5
	v_mul_f64 v[0:1], v[0:1], s[6:7]
	v_mul_f64 v[18:19], v[8:9], s[6:7]
	ds_read2_b64 v[8:11], v190 offset0:32 offset1:232
	v_fma_f32 v14, v163, v5, -v14
	v_fmac_f32_e32 v13, v163, v4
	v_cvt_f64_f32_e32 v[22:23], v14
	v_cvt_f64_f32_e32 v[4:5], v13
	ds_read2_b64 v[12:15], v192 offset0:48 offset1:248
	v_cvt_f32_f64_e32 v0, v[0:1]
	v_cvt_f32_f64_e32 v1, v[18:19]
	s_waitcnt lgkmcnt(1)
	v_mul_f32_e32 v18, v160, v9
	v_fmac_f32_e32 v18, v159, v8
	v_mad_u64_u32 v[24:25], null, s1, v183, v[21:22]
	v_mul_f64 v[4:5], v[4:5], s[6:7]
	v_mul_f64 v[28:29], v[22:23], s[6:7]
	v_mul_f32_e32 v8, v160, v8
	s_waitcnt lgkmcnt(0)
	v_mul_f32_e32 v26, v162, v13
	v_cvt_f64_f32_e32 v[30:31], v18
	v_mov_b32_e32 v21, v24
	v_add_co_u32 v24, vcc_lo, s2, v16
	v_mul_f32_e32 v16, v162, v12
	v_add_co_ci_u32_e32 v25, vcc_lo, s3, v17, vcc_lo
	v_lshlrev_b64 v[20:21], 3, v[20:21]
	v_fma_f32 v22, v159, v9, -v8
	v_fma_f32 v23, v161, v13, -v16
	ds_read2_b64 v[16:19], v188 offset1:200
	v_fmac_f32_e32 v26, v161, v12
	s_mul_i32 s2, s1, 0xc80
	v_add_co_u32 v8, vcc_lo, v24, v20
	v_add_co_ci_u32_e32 v9, vcc_lo, v25, v21, vcc_lo
	v_cvt_f64_f32_e32 v[12:13], v22
	v_cvt_f64_f32_e32 v[32:33], v26
	;; [unrolled: 1-line block ×3, first 2 shown]
	ds_read2_b64 v[20:23], v191 offset0:16 offset1:216
	ds_read2_b64 v[24:27], v186 offset0:32 offset1:232
	global_store_dwordx2 v[8:9], v[0:1], off
	v_cvt_f32_f64_e32 v0, v[4:5]
	v_cvt_f32_f64_e32 v1, v[28:29]
	s_mul_hi_u32 s3, s0, 0xc80
	s_mulk_i32 s1, 0x95c0
	s_add_i32 s2, s3, s2
	s_mul_i32 s3, s0, 0xc80
	s_waitcnt lgkmcnt(2)
	v_mul_f32_e32 v28, v156, v17
	v_add_co_u32 v4, vcc_lo, v8, s3
	v_add_co_ci_u32_e32 v5, vcc_lo, s2, v9, vcc_lo
	v_fmac_f32_e32 v28, v155, v16
	v_mul_f64 v[8:9], v[30:31], s[6:7]
	v_mul_f32_e32 v16, v156, v16
	v_mul_f64 v[12:13], v[12:13], s[6:7]
	v_cvt_f64_f32_e32 v[44:45], v28
	s_waitcnt lgkmcnt(1)
	v_mul_f32_e32 v28, v152, v21
	v_mul_f32_e32 v29, v152, v20
	v_mul_f64 v[40:41], v[32:33], s[6:7]
	s_waitcnt lgkmcnt(0)
	v_mul_f32_e32 v32, v154, v25
	v_mul_f32_e32 v30, v154, v24
	v_mul_f64 v[42:43], v[34:35], s[6:7]
	v_fmac_f32_e32 v28, v151, v20
	v_fma_f32 v29, v151, v21, -v29
	v_fmac_f32_e32 v32, v153, v24
	v_fma_f32 v33, v153, v25, -v30
	global_store_dwordx2 v[4:5], v[0:1], off
	v_cvt_f64_f32_e32 v[20:21], v28
	v_cvt_f64_f32_e32 v[24:25], v29
	ds_read2_b64 v[28:31], v189 offset0:48 offset1:248
	v_cvt_f64_f32_e32 v[46:47], v32
	v_cvt_f64_f32_e32 v[48:49], v33
	ds_read2_b64 v[32:35], v185 offset1:200
	ds_read2_b64 v[36:39], v187 offset0:16 offset1:216
	v_fma_f32 v16, v155, v17, -v16
	v_cvt_f32_f64_e32 v0, v[8:9]
	v_add_co_u32 v4, vcc_lo, v4, s3
	v_cvt_f32_f64_e32 v1, v[12:13]
	v_cvt_f64_f32_e32 v[16:17], v16
	v_add_co_ci_u32_e32 v5, vcc_lo, s2, v5, vcc_lo
	v_cvt_f32_f64_e32 v8, v[40:41]
	v_mul_f64 v[40:41], v[44:45], s[6:7]
	v_cvt_f32_f64_e32 v9, v[42:43]
	v_add_co_u32 v12, vcc_lo, v4, s3
	v_add_co_ci_u32_e32 v13, vcc_lo, s2, v5, vcc_lo
	global_store_dwordx2 v[4:5], v[0:1], off
	global_store_dwordx2 v[12:13], v[8:9], off
	s_waitcnt lgkmcnt(2)
	v_mul_f32_e32 v50, v148, v29
	s_waitcnt lgkmcnt(0)
	v_mul_f32_e32 v51, v146, v37
	v_mul_f64 v[44:45], v[48:49], s[6:7]
	v_mul_f32_e32 v48, v150, v33
	v_mul_f32_e32 v49, v150, v32
	v_fmac_f32_e32 v50, v147, v28
	v_mul_f32_e32 v28, v148, v28
	v_fmac_f32_e32 v51, v145, v36
	;; [unrolled: 2-line block ×3, first 2 shown]
	v_mul_f64 v[20:21], v[20:21], s[6:7]
	v_fma_f32 v28, v147, v29, -v28
	v_fma_f32 v49, v149, v33, -v49
	;; [unrolled: 1-line block ×3, first 2 shown]
	v_mul_f64 v[16:17], v[16:17], s[6:7]
	v_mul_f64 v[42:43], v[46:47], s[6:7]
	v_cvt_f64_f32_e32 v[32:33], v48
	v_mul_f64 v[24:25], v[24:25], s[6:7]
	v_cvt_f64_f32_e32 v[46:47], v50
	v_cvt_f64_f32_e32 v[28:29], v28
	v_cvt_f64_f32_e32 v[48:49], v49
	v_cvt_f64_f32_e32 v[50:51], v51
	v_cvt_f64_f32_e32 v[4:5], v36
	v_add_co_u32 v8, vcc_lo, v12, s3
	v_cvt_f32_f64_e32 v0, v[40:41]
	v_add_co_ci_u32_e32 v9, vcc_lo, s2, v13, vcc_lo
	v_cvt_f32_f64_e32 v12, v[20:21]
	v_cvt_f32_f64_e32 v21, v[44:45]
	v_mul_f32_e32 v44, v142, v7
	v_mul_f32_e32 v45, v142, v6
	v_cvt_f32_f64_e32 v1, v[16:17]
	v_cvt_f32_f64_e32 v20, v[42:43]
	v_mul_f64 v[32:33], v[32:33], s[6:7]
	v_mul_f32_e32 v42, v125, v3
	v_mul_f32_e32 v43, v125, v2
	v_cvt_f32_f64_e32 v13, v[24:25]
	v_mul_f64 v[24:25], v[46:47], s[6:7]
	v_mul_f64 v[28:29], v[28:29], s[6:7]
	;; [unrolled: 1-line block ×3, first 2 shown]
	v_fmac_f32_e32 v44, v141, v6
	v_mul_f64 v[40:41], v[50:51], s[6:7]
	v_mul_f64 v[4:5], v[4:5], s[6:7]
	v_fma_f32 v46, v141, v7, -v45
	v_fmac_f32_e32 v42, v124, v2
	v_fma_f32 v43, v124, v3, -v43
	v_cvt_f64_f32_e32 v[44:45], v44
	v_add_co_u32 v16, vcc_lo, v8, s3
	v_cvt_f64_f32_e32 v[46:47], v46
	v_cvt_f64_f32_e32 v[6:7], v42
	;; [unrolled: 1-line block ×3, first 2 shown]
	v_add_co_ci_u32_e32 v17, vcc_lo, s2, v9, vcc_lo
	v_add_co_u32 v2, vcc_lo, v16, s3
	v_add_co_ci_u32_e32 v3, vcc_lo, s2, v17, vcc_lo
	global_store_dwordx2 v[8:9], v[0:1], off
	global_store_dwordx2 v[16:17], v[12:13], off
	;; [unrolled: 1-line block ×3, first 2 shown]
	v_cvt_f32_f64_e32 v8, v[32:33]
	v_mul_f32_e32 v32, v138, v11
	v_cvt_f32_f64_e32 v0, v[24:25]
	v_cvt_f32_f64_e32 v1, v[28:29]
	;; [unrolled: 1-line block ×3, first 2 shown]
	v_mul_f32_e32 v36, v144, v15
	v_cvt_f32_f64_e32 v16, v[40:41]
	v_cvt_f32_f64_e32 v17, v[4:5]
	v_fmac_f32_e32 v32, v137, v10
	v_mul_f64 v[20:21], v[44:45], s[6:7]
	v_mul_f32_e32 v10, v138, v10
	v_mul_f32_e32 v37, v144, v14
	v_fmac_f32_e32 v36, v143, v14
	v_add_co_u32 v2, vcc_lo, v2, s3
	v_mul_f64 v[24:25], v[46:47], s[6:7]
	v_add_co_ci_u32_e32 v3, vcc_lo, s2, v3, vcc_lo
	v_mul_f64 v[4:5], v[6:7], s[6:7]
	v_mul_f64 v[6:7], v[42:43], s[6:7]
	v_cvt_f64_f32_e32 v[32:33], v32
	v_fma_f32 v40, v137, v11, -v10
	v_fma_f32 v41, v143, v15, -v37
	v_cvt_f64_f32_e32 v[36:37], v36
	v_add_co_u32 v12, vcc_lo, v2, s3
	v_add_co_ci_u32_e32 v13, vcc_lo, s2, v3, vcc_lo
	v_cvt_f64_f32_e32 v[14:15], v40
	v_add_co_u32 v28, vcc_lo, v12, s3
	v_cvt_f64_f32_e32 v[40:41], v41
	v_add_co_ci_u32_e32 v29, vcc_lo, s2, v13, vcc_lo
	global_store_dwordx2 v[2:3], v[0:1], off
	global_store_dwordx2 v[12:13], v[8:9], off
	;; [unrolled: 1-line block ×3, first 2 shown]
	v_mul_f32_e32 v16, v140, v19
	v_mul_f32_e32 v8, v140, v18
	v_mad_u64_u32 v[10:11], null, 0xffff95c0, s0, v[28:29]
	v_mul_f32_e32 v28, v127, v31
	v_cvt_f32_f64_e32 v2, v[20:21]
	v_fmac_f32_e32 v16, v139, v18
	v_fma_f32 v18, v139, v19, -v8
	v_mul_f32_e32 v20, v134, v23
	v_mul_f32_e32 v21, v134, v22
	v_cvt_f32_f64_e32 v3, v[24:25]
	v_mul_f32_e32 v24, v136, v27
	v_mul_f32_e32 v25, v136, v26
	v_fmac_f32_e32 v28, v126, v30
	v_mul_f32_e32 v30, v127, v30
	v_cvt_f32_f64_e32 v1, v[6:7]
	v_mul_f64 v[6:7], v[32:33], s[6:7]
	v_mul_f32_e32 v32, v130, v35
	v_mul_f32_e32 v33, v130, v34
	v_cvt_f32_f64_e32 v0, v[4:5]
	v_mul_f64 v[12:13], v[36:37], s[6:7]
	v_cvt_f64_f32_e32 v[16:17], v16
	v_cvt_f64_f32_e32 v[18:19], v18
	v_fmac_f32_e32 v20, v133, v22
	v_fma_f32 v22, v133, v23, -v21
	v_mul_f32_e32 v36, v132, v39
	v_mul_f32_e32 v37, v132, v38
	v_fmac_f32_e32 v24, v135, v26
	v_fma_f32 v26, v135, v27, -v25
	v_fma_f32 v30, v126, v31, -v30
	v_fmac_f32_e32 v32, v129, v34
	v_fma_f32 v34, v129, v35, -v33
	v_mul_f64 v[8:9], v[14:15], s[6:7]
	v_cvt_f64_f32_e32 v[20:21], v20
	v_cvt_f64_f32_e32 v[22:23], v22
	v_fmac_f32_e32 v36, v131, v38
	v_fma_f32 v38, v131, v39, -v37
	v_mul_f64 v[14:15], v[40:41], s[6:7]
	v_cvt_f64_f32_e32 v[24:25], v24
	v_cvt_f64_f32_e32 v[26:27], v26
	;; [unrolled: 1-line block ×8, first 2 shown]
	s_sub_i32 s0, s1, s0
	v_add_co_u32 v4, vcc_lo, v10, s3
	v_add_nc_u32_e32 v11, s0, v11
	v_cvt_f32_f64_e32 v12, v[12:13]
	v_add_co_ci_u32_e32 v5, vcc_lo, s2, v11, vcc_lo
	global_store_dwordx2 v[10:11], v[0:1], off
	global_store_dwordx2 v[4:5], v[2:3], off
	v_cvt_f32_f64_e32 v0, v[6:7]
	v_mul_f64 v[2:3], v[16:17], s[6:7]
	v_mul_f64 v[6:7], v[18:19], s[6:7]
	v_cvt_f32_f64_e32 v1, v[8:9]
	v_mul_f64 v[8:9], v[20:21], s[6:7]
	v_mul_f64 v[10:11], v[22:23], s[6:7]
	;; [unrolled: 3-line block ×3, first 2 shown]
	v_mul_f64 v[18:19], v[28:29], s[6:7]
	v_mul_f64 v[20:21], v[30:31], s[6:7]
	;; [unrolled: 1-line block ×6, first 2 shown]
	v_add_co_u32 v4, vcc_lo, v4, s3
	v_add_co_ci_u32_e32 v5, vcc_lo, s2, v5, vcc_lo
	v_add_co_u32 v30, vcc_lo, v4, s3
	v_add_co_ci_u32_e32 v31, vcc_lo, s2, v5, vcc_lo
	v_cvt_f32_f64_e32 v2, v[2:3]
	v_cvt_f32_f64_e32 v3, v[6:7]
	v_add_co_u32 v6, vcc_lo, v30, s3
	v_add_co_ci_u32_e32 v7, vcc_lo, s2, v31, vcc_lo
	v_cvt_f32_f64_e32 v8, v[8:9]
	v_cvt_f32_f64_e32 v9, v[10:11]
	;; [unrolled: 4-line block ×3, first 2 shown]
	v_cvt_f32_f64_e32 v16, v[18:19]
	v_cvt_f32_f64_e32 v17, v[20:21]
	;; [unrolled: 1-line block ×6, first 2 shown]
	v_add_co_u32 v22, vcc_lo, v10, s3
	v_add_co_ci_u32_e32 v23, vcc_lo, s2, v11, vcc_lo
	global_store_dwordx2 v[4:5], v[0:1], off
	v_add_co_u32 v0, vcc_lo, v22, s3
	v_add_co_ci_u32_e32 v1, vcc_lo, s2, v23, vcc_lo
	global_store_dwordx2 v[30:31], v[12:13], off
	;; [unrolled: 3-line block ×4, first 2 shown]
	global_store_dwordx2 v[22:23], v[14:15], off
	global_store_dwordx2 v[0:1], v[16:17], off
	global_store_dwordx2 v[4:5], v[18:19], off
	global_store_dwordx2 v[2:3], v[20:21], off
.LBB0_2:
	s_endpgm
	.section	.rodata,"a",@progbits
	.p2align	6, 0x0
	.amdhsa_kernel bluestein_single_fwd_len4000_dim1_sp_op_CI_CI
		.amdhsa_group_segment_fixed_size 32000
		.amdhsa_private_segment_fixed_size 0
		.amdhsa_kernarg_size 104
		.amdhsa_user_sgpr_count 6
		.amdhsa_user_sgpr_private_segment_buffer 1
		.amdhsa_user_sgpr_dispatch_ptr 0
		.amdhsa_user_sgpr_queue_ptr 0
		.amdhsa_user_sgpr_kernarg_segment_ptr 1
		.amdhsa_user_sgpr_dispatch_id 0
		.amdhsa_user_sgpr_flat_scratch_init 0
		.amdhsa_user_sgpr_private_segment_size 0
		.amdhsa_wavefront_size32 1
		.amdhsa_uses_dynamic_stack 0
		.amdhsa_system_sgpr_private_segment_wavefront_offset 0
		.amdhsa_system_sgpr_workgroup_id_x 1
		.amdhsa_system_sgpr_workgroup_id_y 0
		.amdhsa_system_sgpr_workgroup_id_z 0
		.amdhsa_system_sgpr_workgroup_info 0
		.amdhsa_system_vgpr_workitem_id 0
		.amdhsa_next_free_vgpr 250
		.amdhsa_next_free_sgpr 20
		.amdhsa_reserve_vcc 1
		.amdhsa_reserve_flat_scratch 0
		.amdhsa_float_round_mode_32 0
		.amdhsa_float_round_mode_16_64 0
		.amdhsa_float_denorm_mode_32 3
		.amdhsa_float_denorm_mode_16_64 3
		.amdhsa_dx10_clamp 1
		.amdhsa_ieee_mode 1
		.amdhsa_fp16_overflow 0
		.amdhsa_workgroup_processor_mode 1
		.amdhsa_memory_ordered 1
		.amdhsa_forward_progress 0
		.amdhsa_shared_vgpr_count 0
		.amdhsa_exception_fp_ieee_invalid_op 0
		.amdhsa_exception_fp_denorm_src 0
		.amdhsa_exception_fp_ieee_div_zero 0
		.amdhsa_exception_fp_ieee_overflow 0
		.amdhsa_exception_fp_ieee_underflow 0
		.amdhsa_exception_fp_ieee_inexact 0
		.amdhsa_exception_int_div_zero 0
	.end_amdhsa_kernel
	.text
.Lfunc_end0:
	.size	bluestein_single_fwd_len4000_dim1_sp_op_CI_CI, .Lfunc_end0-bluestein_single_fwd_len4000_dim1_sp_op_CI_CI
                                        ; -- End function
	.section	.AMDGPU.csdata,"",@progbits
; Kernel info:
; codeLenInByte = 20684
; NumSgprs: 22
; NumVgprs: 250
; ScratchSize: 0
; MemoryBound: 0
; FloatMode: 240
; IeeeMode: 1
; LDSByteSize: 32000 bytes/workgroup (compile time only)
; SGPRBlocks: 2
; VGPRBlocks: 31
; NumSGPRsForWavesPerEU: 22
; NumVGPRsForWavesPerEU: 250
; Occupancy: 4
; WaveLimiterHint : 1
; COMPUTE_PGM_RSRC2:SCRATCH_EN: 0
; COMPUTE_PGM_RSRC2:USER_SGPR: 6
; COMPUTE_PGM_RSRC2:TRAP_HANDLER: 0
; COMPUTE_PGM_RSRC2:TGID_X_EN: 1
; COMPUTE_PGM_RSRC2:TGID_Y_EN: 0
; COMPUTE_PGM_RSRC2:TGID_Z_EN: 0
; COMPUTE_PGM_RSRC2:TIDIG_COMP_CNT: 0
	.text
	.p2alignl 6, 3214868480
	.fill 48, 4, 3214868480
	.type	__hip_cuid_8f5c47e520ea7ceb,@object ; @__hip_cuid_8f5c47e520ea7ceb
	.section	.bss,"aw",@nobits
	.globl	__hip_cuid_8f5c47e520ea7ceb
__hip_cuid_8f5c47e520ea7ceb:
	.byte	0                               ; 0x0
	.size	__hip_cuid_8f5c47e520ea7ceb, 1

	.ident	"AMD clang version 19.0.0git (https://github.com/RadeonOpenCompute/llvm-project roc-6.4.0 25133 c7fe45cf4b819c5991fe208aaa96edf142730f1d)"
	.section	".note.GNU-stack","",@progbits
	.addrsig
	.addrsig_sym __hip_cuid_8f5c47e520ea7ceb
	.amdgpu_metadata
---
amdhsa.kernels:
  - .args:
      - .actual_access:  read_only
        .address_space:  global
        .offset:         0
        .size:           8
        .value_kind:     global_buffer
      - .actual_access:  read_only
        .address_space:  global
        .offset:         8
        .size:           8
        .value_kind:     global_buffer
      - .actual_access:  read_only
        .address_space:  global
        .offset:         16
        .size:           8
        .value_kind:     global_buffer
      - .actual_access:  read_only
        .address_space:  global
        .offset:         24
        .size:           8
        .value_kind:     global_buffer
      - .actual_access:  read_only
        .address_space:  global
        .offset:         32
        .size:           8
        .value_kind:     global_buffer
      - .offset:         40
        .size:           8
        .value_kind:     by_value
      - .address_space:  global
        .offset:         48
        .size:           8
        .value_kind:     global_buffer
      - .address_space:  global
        .offset:         56
        .size:           8
        .value_kind:     global_buffer
      - .address_space:  global
        .offset:         64
        .size:           8
        .value_kind:     global_buffer
      - .address_space:  global
        .offset:         72
        .size:           8
        .value_kind:     global_buffer
      - .offset:         80
        .size:           4
        .value_kind:     by_value
      - .address_space:  global
        .offset:         88
        .size:           8
        .value_kind:     global_buffer
      - .address_space:  global
        .offset:         96
        .size:           8
        .value_kind:     global_buffer
    .group_segment_fixed_size: 32000
    .kernarg_segment_align: 8
    .kernarg_segment_size: 104
    .language:       OpenCL C
    .language_version:
      - 2
      - 0
    .max_flat_workgroup_size: 200
    .name:           bluestein_single_fwd_len4000_dim1_sp_op_CI_CI
    .private_segment_fixed_size: 0
    .sgpr_count:     22
    .sgpr_spill_count: 0
    .symbol:         bluestein_single_fwd_len4000_dim1_sp_op_CI_CI.kd
    .uniform_work_group_size: 1
    .uses_dynamic_stack: false
    .vgpr_count:     250
    .vgpr_spill_count: 0
    .wavefront_size: 32
    .workgroup_processor_mode: 1
amdhsa.target:   amdgcn-amd-amdhsa--gfx1030
amdhsa.version:
  - 1
  - 2
...

	.end_amdgpu_metadata
